;; amdgpu-corpus repo=ROCm/rocFFT kind=compiled arch=gfx906 opt=O3
	.text
	.amdgcn_target "amdgcn-amd-amdhsa--gfx906"
	.amdhsa_code_object_version 6
	.protected	fft_rtc_back_len2025_factors_3_3_5_5_3_3_wgs_135_tpt_135_halfLds_dp_ip_CI_sbrr_dirReg ; -- Begin function fft_rtc_back_len2025_factors_3_3_5_5_3_3_wgs_135_tpt_135_halfLds_dp_ip_CI_sbrr_dirReg
	.globl	fft_rtc_back_len2025_factors_3_3_5_5_3_3_wgs_135_tpt_135_halfLds_dp_ip_CI_sbrr_dirReg
	.p2align	8
	.type	fft_rtc_back_len2025_factors_3_3_5_5_3_3_wgs_135_tpt_135_halfLds_dp_ip_CI_sbrr_dirReg,@function
fft_rtc_back_len2025_factors_3_3_5_5_3_3_wgs_135_tpt_135_halfLds_dp_ip_CI_sbrr_dirReg: ; @fft_rtc_back_len2025_factors_3_3_5_5_3_3_wgs_135_tpt_135_halfLds_dp_ip_CI_sbrr_dirReg
; %bb.0:
	s_load_dwordx2 s[14:15], s[4:5], 0x18
	s_load_dwordx4 s[8:11], s[4:5], 0x0
	s_load_dwordx2 s[12:13], s[4:5], 0x50
	v_mul_u32_u24_e32 v1, 0x1e6, v0
	v_add_u32_sdwa v5, s6, v1 dst_sel:DWORD dst_unused:UNUSED_PAD src0_sel:DWORD src1_sel:WORD_1
	s_waitcnt lgkmcnt(0)
	s_load_dwordx2 s[2:3], s[14:15], 0x0
	v_cmp_lt_u64_e64 s[0:1], s[10:11], 2
	v_mov_b32_e32 v3, 0
	v_mov_b32_e32 v1, 0
	;; [unrolled: 1-line block ×3, first 2 shown]
	s_and_b64 vcc, exec, s[0:1]
	v_mov_b32_e32 v2, 0
	s_cbranch_vccnz .LBB0_8
; %bb.1:
	s_load_dwordx2 s[0:1], s[4:5], 0x10
	s_add_u32 s6, s14, 8
	s_addc_u32 s7, s15, 0
	v_mov_b32_e32 v1, 0
	v_mov_b32_e32 v2, 0
	s_waitcnt lgkmcnt(0)
	s_add_u32 s16, s0, 8
	s_addc_u32 s17, s1, 0
	s_mov_b64 s[18:19], 1
.LBB0_2:                                ; =>This Inner Loop Header: Depth=1
	s_load_dwordx2 s[20:21], s[16:17], 0x0
                                        ; implicit-def: $vgpr7_vgpr8
	s_waitcnt lgkmcnt(0)
	v_or_b32_e32 v4, s21, v6
	v_cmp_ne_u64_e32 vcc, 0, v[3:4]
	s_and_saveexec_b64 s[0:1], vcc
	s_xor_b64 s[22:23], exec, s[0:1]
	s_cbranch_execz .LBB0_4
; %bb.3:                                ;   in Loop: Header=BB0_2 Depth=1
	v_cvt_f32_u32_e32 v4, s20
	v_cvt_f32_u32_e32 v7, s21
	s_sub_u32 s0, 0, s20
	s_subb_u32 s1, 0, s21
	v_mac_f32_e32 v4, 0x4f800000, v7
	v_rcp_f32_e32 v4, v4
	v_mul_f32_e32 v4, 0x5f7ffffc, v4
	v_mul_f32_e32 v7, 0x2f800000, v4
	v_trunc_f32_e32 v7, v7
	v_mac_f32_e32 v4, 0xcf800000, v7
	v_cvt_u32_f32_e32 v7, v7
	v_cvt_u32_f32_e32 v4, v4
	v_mul_lo_u32 v8, s0, v7
	v_mul_hi_u32 v9, s0, v4
	v_mul_lo_u32 v11, s1, v4
	v_mul_lo_u32 v10, s0, v4
	v_add_u32_e32 v8, v9, v8
	v_add_u32_e32 v8, v8, v11
	v_mul_hi_u32 v9, v4, v10
	v_mul_lo_u32 v11, v4, v8
	v_mul_hi_u32 v13, v4, v8
	v_mul_hi_u32 v12, v7, v10
	v_mul_lo_u32 v10, v7, v10
	v_mul_hi_u32 v14, v7, v8
	v_add_co_u32_e32 v9, vcc, v9, v11
	v_addc_co_u32_e32 v11, vcc, 0, v13, vcc
	v_mul_lo_u32 v8, v7, v8
	v_add_co_u32_e32 v9, vcc, v9, v10
	v_addc_co_u32_e32 v9, vcc, v11, v12, vcc
	v_addc_co_u32_e32 v10, vcc, 0, v14, vcc
	v_add_co_u32_e32 v8, vcc, v9, v8
	v_addc_co_u32_e32 v9, vcc, 0, v10, vcc
	v_add_co_u32_e32 v4, vcc, v4, v8
	v_addc_co_u32_e32 v7, vcc, v7, v9, vcc
	v_mul_lo_u32 v8, s0, v7
	v_mul_hi_u32 v9, s0, v4
	v_mul_lo_u32 v10, s1, v4
	v_mul_lo_u32 v11, s0, v4
	v_add_u32_e32 v8, v9, v8
	v_add_u32_e32 v8, v8, v10
	v_mul_lo_u32 v12, v4, v8
	v_mul_hi_u32 v13, v4, v11
	v_mul_hi_u32 v14, v4, v8
	;; [unrolled: 1-line block ×3, first 2 shown]
	v_mul_lo_u32 v11, v7, v11
	v_mul_hi_u32 v9, v7, v8
	v_add_co_u32_e32 v12, vcc, v13, v12
	v_addc_co_u32_e32 v13, vcc, 0, v14, vcc
	v_mul_lo_u32 v8, v7, v8
	v_add_co_u32_e32 v11, vcc, v12, v11
	v_addc_co_u32_e32 v10, vcc, v13, v10, vcc
	v_addc_co_u32_e32 v9, vcc, 0, v9, vcc
	v_add_co_u32_e32 v8, vcc, v10, v8
	v_addc_co_u32_e32 v9, vcc, 0, v9, vcc
	v_add_co_u32_e32 v4, vcc, v4, v8
	v_addc_co_u32_e32 v9, vcc, v7, v9, vcc
	v_mad_u64_u32 v[7:8], s[0:1], v5, v9, 0
	v_mul_hi_u32 v10, v5, v4
	v_add_co_u32_e32 v11, vcc, v10, v7
	v_addc_co_u32_e32 v12, vcc, 0, v8, vcc
	v_mad_u64_u32 v[7:8], s[0:1], v6, v4, 0
	v_mad_u64_u32 v[9:10], s[0:1], v6, v9, 0
	v_add_co_u32_e32 v4, vcc, v11, v7
	v_addc_co_u32_e32 v4, vcc, v12, v8, vcc
	v_addc_co_u32_e32 v7, vcc, 0, v10, vcc
	v_add_co_u32_e32 v4, vcc, v4, v9
	v_addc_co_u32_e32 v9, vcc, 0, v7, vcc
	v_mul_lo_u32 v10, s21, v4
	v_mul_lo_u32 v11, s20, v9
	v_mad_u64_u32 v[7:8], s[0:1], s20, v4, 0
	v_add3_u32 v8, v8, v11, v10
	v_sub_u32_e32 v10, v6, v8
	v_mov_b32_e32 v11, s21
	v_sub_co_u32_e32 v7, vcc, v5, v7
	v_subb_co_u32_e64 v10, s[0:1], v10, v11, vcc
	v_subrev_co_u32_e64 v11, s[0:1], s20, v7
	v_subbrev_co_u32_e64 v10, s[0:1], 0, v10, s[0:1]
	v_cmp_le_u32_e64 s[0:1], s21, v10
	v_cndmask_b32_e64 v12, 0, -1, s[0:1]
	v_cmp_le_u32_e64 s[0:1], s20, v11
	v_cndmask_b32_e64 v11, 0, -1, s[0:1]
	v_cmp_eq_u32_e64 s[0:1], s21, v10
	v_cndmask_b32_e64 v10, v12, v11, s[0:1]
	v_add_co_u32_e64 v11, s[0:1], 2, v4
	v_addc_co_u32_e64 v12, s[0:1], 0, v9, s[0:1]
	v_add_co_u32_e64 v13, s[0:1], 1, v4
	v_addc_co_u32_e64 v14, s[0:1], 0, v9, s[0:1]
	v_subb_co_u32_e32 v8, vcc, v6, v8, vcc
	v_cmp_ne_u32_e64 s[0:1], 0, v10
	v_cmp_le_u32_e32 vcc, s21, v8
	v_cndmask_b32_e64 v10, v14, v12, s[0:1]
	v_cndmask_b32_e64 v12, 0, -1, vcc
	v_cmp_le_u32_e32 vcc, s20, v7
	v_cndmask_b32_e64 v7, 0, -1, vcc
	v_cmp_eq_u32_e32 vcc, s21, v8
	v_cndmask_b32_e32 v7, v12, v7, vcc
	v_cmp_ne_u32_e32 vcc, 0, v7
	v_cndmask_b32_e64 v7, v13, v11, s[0:1]
	v_cndmask_b32_e32 v8, v9, v10, vcc
	v_cndmask_b32_e32 v7, v4, v7, vcc
.LBB0_4:                                ;   in Loop: Header=BB0_2 Depth=1
	s_andn2_saveexec_b64 s[0:1], s[22:23]
	s_cbranch_execz .LBB0_6
; %bb.5:                                ;   in Loop: Header=BB0_2 Depth=1
	v_cvt_f32_u32_e32 v4, s20
	s_sub_i32 s22, 0, s20
	v_rcp_iflag_f32_e32 v4, v4
	v_mul_f32_e32 v4, 0x4f7ffffe, v4
	v_cvt_u32_f32_e32 v4, v4
	v_mul_lo_u32 v7, s22, v4
	v_mul_hi_u32 v7, v4, v7
	v_add_u32_e32 v4, v4, v7
	v_mul_hi_u32 v4, v5, v4
	v_mul_lo_u32 v7, v4, s20
	v_add_u32_e32 v8, 1, v4
	v_sub_u32_e32 v7, v5, v7
	v_subrev_u32_e32 v9, s20, v7
	v_cmp_le_u32_e32 vcc, s20, v7
	v_cndmask_b32_e32 v7, v7, v9, vcc
	v_cndmask_b32_e32 v4, v4, v8, vcc
	v_add_u32_e32 v8, 1, v4
	v_cmp_le_u32_e32 vcc, s20, v7
	v_cndmask_b32_e32 v7, v4, v8, vcc
	v_mov_b32_e32 v8, v3
.LBB0_6:                                ;   in Loop: Header=BB0_2 Depth=1
	s_or_b64 exec, exec, s[0:1]
	v_mul_lo_u32 v4, v8, s20
	v_mul_lo_u32 v11, v7, s21
	v_mad_u64_u32 v[9:10], s[0:1], v7, s20, 0
	s_load_dwordx2 s[0:1], s[6:7], 0x0
	s_add_u32 s18, s18, 1
	v_add3_u32 v4, v10, v11, v4
	v_sub_co_u32_e32 v5, vcc, v5, v9
	v_subb_co_u32_e32 v4, vcc, v6, v4, vcc
	s_waitcnt lgkmcnt(0)
	v_mul_lo_u32 v4, s0, v4
	v_mul_lo_u32 v6, s1, v5
	v_mad_u64_u32 v[1:2], s[0:1], s0, v5, v[1:2]
	s_addc_u32 s19, s19, 0
	s_add_u32 s6, s6, 8
	v_add3_u32 v2, v6, v2, v4
	v_mov_b32_e32 v4, s10
	v_mov_b32_e32 v5, s11
	s_addc_u32 s7, s7, 0
	v_cmp_ge_u64_e32 vcc, s[18:19], v[4:5]
	s_add_u32 s16, s16, 8
	s_addc_u32 s17, s17, 0
	s_cbranch_vccnz .LBB0_9
; %bb.7:                                ;   in Loop: Header=BB0_2 Depth=1
	v_mov_b32_e32 v5, v7
	v_mov_b32_e32 v6, v8
	s_branch .LBB0_2
.LBB0_8:
	v_mov_b32_e32 v8, v6
	v_mov_b32_e32 v7, v5
.LBB0_9:
	s_lshl_b64 s[0:1], s[10:11], 3
	s_add_u32 s0, s14, s0
	s_addc_u32 s1, s15, s1
	s_load_dwordx2 s[6:7], s[0:1], 0x0
	s_load_dwordx2 s[10:11], s[4:5], 0x20
                                        ; implicit-def: $vgpr63
                                        ; implicit-def: $vgpr64
                                        ; implicit-def: $vgpr65
                                        ; implicit-def: $vgpr66
	s_waitcnt lgkmcnt(0)
	v_mad_u64_u32 v[1:2], s[0:1], s6, v7, v[1:2]
	s_mov_b32 s0, 0x1e573ad
	v_mul_lo_u32 v3, s6, v8
	v_mul_lo_u32 v4, s7, v7
	v_mul_hi_u32 v5, v0, s0
	v_cmp_gt_u64_e32 vcc, s[10:11], v[7:8]
	v_cmp_le_u64_e64 s[0:1], s[10:11], v[7:8]
	v_add3_u32 v2, v4, v2, v3
	v_mul_u32_u24_e32 v3, 0x87, v5
	v_sub_u32_e32 v62, v0, v3
	s_and_saveexec_b64 s[4:5], s[0:1]
	s_xor_b64 s[0:1], exec, s[4:5]
; %bb.10:
	v_add_u32_e32 v63, 0x87, v62
	v_add_u32_e32 v64, 0x10e, v62
	;; [unrolled: 1-line block ×4, first 2 shown]
; %bb.11:
	s_or_saveexec_b64 s[4:5], s[0:1]
	v_lshlrev_b64 v[60:61], 4, v[1:2]
                                        ; implicit-def: $vgpr6_vgpr7
                                        ; implicit-def: $vgpr2_vgpr3
                                        ; implicit-def: $vgpr10_vgpr11
                                        ; implicit-def: $vgpr18_vgpr19
                                        ; implicit-def: $vgpr22_vgpr23
                                        ; implicit-def: $vgpr14_vgpr15
                                        ; implicit-def: $vgpr26_vgpr27
                                        ; implicit-def: $vgpr30_vgpr31
                                        ; implicit-def: $vgpr34_vgpr35
                                        ; implicit-def: $vgpr42_vgpr43
                                        ; implicit-def: $vgpr46_vgpr47
                                        ; implicit-def: $vgpr38_vgpr39
                                        ; implicit-def: $vgpr50_vgpr51
                                        ; implicit-def: $vgpr54_vgpr55
                                        ; implicit-def: $vgpr58_vgpr59
	s_xor_b64 exec, exec, s[4:5]
	s_cbranch_execz .LBB0_13
; %bb.12:
	v_mad_u64_u32 v[0:1], s[0:1], s2, v62, 0
	v_add_u32_e32 v5, 0x2a3, v62
	v_mov_b32_e32 v4, s13
	v_mad_u64_u32 v[1:2], s[0:1], s3, v62, v[1:2]
	v_mad_u64_u32 v[2:3], s[0:1], s2, v5, 0
	v_add_co_u32_e64 v8, s[0:1], s12, v60
	v_addc_co_u32_e64 v9, s[0:1], v4, v61, s[0:1]
	v_mad_u64_u32 v[3:4], s[0:1], s3, v5, v[3:4]
	v_add_u32_e32 v6, 0x546, v62
	v_mad_u64_u32 v[4:5], s[0:1], s2, v6, 0
	v_lshlrev_b64 v[0:1], 4, v[0:1]
	v_add_u32_e32 v63, 0x87, v62
	v_add_co_u32_e64 v67, s[0:1], v8, v0
	v_addc_co_u32_e64 v68, s[0:1], v9, v1, s[0:1]
	v_lshlrev_b64 v[0:1], 4, v[2:3]
	v_mov_b32_e32 v2, v5
	v_mad_u64_u32 v[2:3], s[0:1], s3, v6, v[2:3]
	v_mad_u64_u32 v[6:7], s[0:1], s2, v63, 0
	v_add_co_u32_e64 v69, s[0:1], v8, v0
	v_mov_b32_e32 v5, v2
	v_mov_b32_e32 v2, v7
	v_addc_co_u32_e64 v70, s[0:1], v9, v1, s[0:1]
	v_lshlrev_b64 v[0:1], 4, v[4:5]
	v_mad_u64_u32 v[2:3], s[0:1], s3, v63, v[2:3]
	v_add_u32_e32 v5, 0x32a, v62
	v_mad_u64_u32 v[3:4], s[0:1], s2, v5, 0
	v_add_co_u32_e64 v71, s[0:1], v8, v0
	v_mov_b32_e32 v7, v2
	v_mov_b32_e32 v2, v4
	v_addc_co_u32_e64 v72, s[0:1], v9, v1, s[0:1]
	v_lshlrev_b64 v[0:1], 4, v[6:7]
	v_mad_u64_u32 v[4:5], s[0:1], s3, v5, v[2:3]
	v_add_u32_e32 v7, 0x5cd, v62
	v_mad_u64_u32 v[5:6], s[0:1], s2, v7, 0
	v_add_co_u32_e64 v73, s[0:1], v8, v0
	v_mov_b32_e32 v2, v6
	v_addc_co_u32_e64 v74, s[0:1], v9, v1, s[0:1]
	v_lshlrev_b64 v[0:1], 4, v[3:4]
	v_mad_u64_u32 v[2:3], s[0:1], s3, v7, v[2:3]
	v_add_u32_e32 v64, 0x10e, v62
	v_mad_u64_u32 v[3:4], s[0:1], s2, v64, 0
	v_add_co_u32_e64 v75, s[0:1], v8, v0
	v_mov_b32_e32 v6, v2
	v_mov_b32_e32 v2, v4
	v_addc_co_u32_e64 v76, s[0:1], v9, v1, s[0:1]
	v_lshlrev_b64 v[0:1], 4, v[5:6]
	v_mad_u64_u32 v[4:5], s[0:1], s3, v64, v[2:3]
	v_add_u32_e32 v7, 0x3b1, v62
	v_mad_u64_u32 v[5:6], s[0:1], s2, v7, 0
	v_add_co_u32_e64 v77, s[0:1], v8, v0
	;; [unrolled: 15-line block ×5, first 2 shown]
	v_mov_b32_e32 v2, v6
	v_addc_co_u32_e64 v90, s[0:1], v9, v1, s[0:1]
	v_lshlrev_b64 v[0:1], 4, v[3:4]
	v_mad_u64_u32 v[2:3], s[0:1], s3, v7, v[2:3]
	v_add_u32_e32 v7, 0x762, v62
	v_mad_u64_u32 v[3:4], s[0:1], s2, v7, 0
	v_add_co_u32_e64 v91, s[0:1], v8, v0
	v_mov_b32_e32 v6, v2
	v_mov_b32_e32 v2, v4
	v_addc_co_u32_e64 v92, s[0:1], v9, v1, s[0:1]
	v_lshlrev_b64 v[0:1], 4, v[5:6]
	v_mad_u64_u32 v[4:5], s[0:1], s3, v7, v[2:3]
	v_add_co_u32_e64 v93, s[0:1], v8, v0
	v_addc_co_u32_e64 v94, s[0:1], v9, v1, s[0:1]
	v_lshlrev_b64 v[0:1], 4, v[3:4]
	v_add_co_u32_e64 v95, s[0:1], v8, v0
	v_addc_co_u32_e64 v96, s[0:1], v9, v1, s[0:1]
	global_load_dwordx4 v[56:59], v[67:68], off
	global_load_dwordx4 v[52:55], v[69:70], off
	;; [unrolled: 1-line block ×15, first 2 shown]
.LBB0_13:
	s_or_b64 exec, exec, s[4:5]
	s_waitcnt vmcnt(12)
	v_add_f64 v[67:68], v[48:49], v[52:53]
	v_add_f64 v[71:72], v[52:53], v[56:57]
	v_add_f64 v[73:74], v[54:55], -v[50:51]
	v_add_f64 v[69:70], v[50:51], v[54:55]
	v_add_f64 v[54:55], v[54:55], v[58:59]
	s_mov_b32 s4, 0xe8584caa
	s_mov_b32 s5, 0xbfebb67a
	;; [unrolled: 1-line block ×3, first 2 shown]
	v_fma_f64 v[56:57], v[67:68], -0.5, v[56:57]
	s_mov_b32 s6, s4
	s_waitcnt vmcnt(9)
	v_add_f64 v[67:68], v[40:41], v[44:45]
	v_add_f64 v[52:53], v[52:53], -v[48:49]
	v_add_f64 v[48:49], v[48:49], v[71:72]
	v_fma_f64 v[58:59], v[69:70], -0.5, v[58:59]
	v_add_f64 v[69:70], v[44:45], v[36:37]
	v_add_f64 v[54:55], v[50:51], v[54:55]
	v_fma_f64 v[71:72], v[73:74], s[4:5], v[56:57]
	v_fma_f64 v[56:57], v[73:74], s[6:7], v[56:57]
	v_add_f64 v[73:74], v[42:43], v[46:47]
	v_add_f64 v[50:51], v[46:47], v[38:39]
	s_waitcnt vmcnt(6)
	v_add_f64 v[77:78], v[26:27], v[30:31]
	v_add_f64 v[75:76], v[44:45], -v[40:41]
	v_add_f64 v[44:45], v[24:25], v[28:29]
	v_fma_f64 v[36:37], v[67:68], -0.5, v[36:37]
	v_add_f64 v[46:47], v[46:47], -v[42:43]
	v_add_f64 v[40:41], v[40:41], v[69:70]
	v_fma_f64 v[67:68], v[73:74], -0.5, v[38:39]
	v_add_f64 v[38:39], v[28:29], v[32:33]
	v_add_f64 v[69:70], v[42:43], v[50:51]
	;; [unrolled: 1-line block ×3, first 2 shown]
	v_fma_f64 v[73:74], v[77:78], -0.5, v[34:35]
	s_waitcnt vmcnt(4)
	v_add_f64 v[34:35], v[20:21], v[12:13]
	v_fma_f64 v[32:33], v[44:45], -0.5, v[32:33]
	v_add_f64 v[44:45], v[22:23], v[14:15]
	v_add_f64 v[28:29], v[28:29], -v[24:25]
	v_add_f64 v[24:25], v[24:25], v[38:39]
	s_waitcnt vmcnt(3)
	v_add_f64 v[38:39], v[16:17], v[20:21]
	v_add_f64 v[30:31], v[30:31], -v[26:27]
	v_add_f64 v[26:27], v[26:27], v[42:43]
	v_add_f64 v[42:43], v[22:23], -v[18:19]
	;; [unrolled: 2-line block ×3, first 2 shown]
	v_add_f64 v[16:17], v[16:17], v[34:35]
	s_waitcnt vmcnt(0)
	v_add_f64 v[34:35], v[4:5], v[0:1]
	v_add_f64 v[77:78], v[18:19], v[44:45]
	;; [unrolled: 1-line block ×3, first 2 shown]
	v_fma_f64 v[12:13], v[38:39], -0.5, v[12:13]
	v_fma_f64 v[44:45], v[46:47], s[4:5], v[36:37]
	v_fma_f64 v[22:23], v[22:23], -0.5, v[14:15]
	v_add_f64 v[14:15], v[0:1], v[8:9]
	v_fma_f64 v[36:37], v[46:47], s[6:7], v[36:37]
	v_fma_f64 v[8:9], v[34:35], -0.5, v[8:9]
	v_add_f64 v[34:35], v[2:3], -v[6:7]
	v_fma_f64 v[79:80], v[18:19], -0.5, v[10:11]
	v_add_f64 v[2:3], v[2:3], v[10:11]
	v_fma_f64 v[10:11], v[30:31], s[4:5], v[32:33]
	v_fma_f64 v[18:19], v[30:31], s[6:7], v[32:33]
	;; [unrolled: 1-line block ×4, first 2 shown]
	v_mad_u32_u24 v85, v62, 24, 0
	v_fma_f64 v[32:33], v[34:35], s[4:5], v[8:9]
	v_fma_f64 v[8:9], v[34:35], s[6:7], v[8:9]
	v_mad_i32_i24 v34, v63, 24, 0
	v_mad_i32_i24 v35, v64, 24, 0
	v_add_f64 v[14:15], v[4:5], v[14:15]
	ds_write2_b64 v85, v[48:49], v[71:72] offset1:1
	ds_write_b64 v85, v[56:57] offset:16
	ds_write2_b64 v34, v[40:41], v[44:45] offset1:1
	ds_write_b64 v34, v[36:37] offset:16
	;; [unrolled: 2-line block ×3, first 2 shown]
	v_mad_i32_i24 v37, v65, 24, 0
	v_fma_f64 v[24:25], v[52:53], s[6:7], v[58:59]
	ds_write2_b64 v37, v[16:17], v[30:31] offset1:1
	ds_write_b64 v37, v[12:13] offset:16
	v_fma_f64 v[30:31], v[52:53], s[4:5], v[58:59]
	v_add_f64 v[83:84], v[0:1], -v[4:5]
	v_lshlrev_b32_e32 v0, 4, v62
	v_mad_i32_i24 v38, v66, 24, 0
	v_sub_u32_e32 v39, v85, v0
	v_lshlrev_b32_e32 v42, 4, v66
	v_add_u32_e32 v36, 0x1400, v39
	v_add_u32_e32 v43, 0x2400, v39
	v_lshlrev_b32_e32 v44, 4, v63
	v_add_u32_e32 v40, 0x2c00, v39
	v_lshlrev_b32_e32 v45, 4, v64
	v_lshlrev_b32_e32 v46, 4, v65
	v_sub_u32_e32 v51, v38, v42
	v_add_f64 v[81:82], v[6:7], v[2:3]
	ds_write2_b64 v38, v[14:15], v[32:33] offset1:1
	ds_write_b64 v38, v[8:9] offset:16
	s_waitcnt lgkmcnt(0)
	s_barrier
	ds_read2_b64 v[0:3], v36 offset0:35 offset1:170
	ds_read2_b64 v[4:7], v43 offset0:63 offset1:198
	v_sub_u32_e32 v48, v34, v44
	v_sub_u32_e32 v49, v35, v45
	v_add_u32_e32 v41, 0x1c00, v39
	v_sub_u32_e32 v50, v37, v46
	ds_read_b64 v[32:33], v39
	ds_read_b64 v[95:96], v48
	;; [unrolled: 1-line block ×4, first 2 shown]
	v_add_u32_e32 v47, 0x3400, v39
	ds_read_b64 v[101:102], v51
	ds_read2_b64 v[8:11], v40 offset0:77 offset1:212
	ds_read2_b64 v[12:15], v41 offset0:49 offset1:184
	ds_read2_b64 v[16:19], v47 offset0:91 offset1:226
	s_waitcnt lgkmcnt(0)
	s_barrier
	ds_write2_b64 v85, v[54:55], v[24:25] offset1:1
	ds_write_b64 v85, v[30:31] offset:16
	v_fma_f64 v[24:25], v[75:76], s[6:7], v[67:68]
	v_fma_f64 v[30:31], v[75:76], s[4:5], v[67:68]
	;; [unrolled: 1-line block ×8, first 2 shown]
	s_movk_i32 s0, 0xab
	ds_write2_b64 v34, v[69:70], v[24:25] offset1:1
	ds_write_b64 v34, v[30:31] offset:16
	ds_write2_b64 v35, v[26:27], v[52:53] offset1:1
	ds_write_b64 v35, v[28:29] offset:16
	;; [unrolled: 2-line block ×4, first 2 shown]
	v_mul_lo_u16_sdwa v20, v62, s0 dst_sel:DWORD dst_unused:UNUSED_PAD src0_sel:BYTE_0 src1_sel:DWORD
	s_mov_b32 s0, 0xaaab
	v_lshrrev_b16_e32 v109, 9, v20
	v_mul_u32_u24_sdwa v24, v63, s0 dst_sel:DWORD dst_unused:UNUSED_PAD src0_sel:WORD_0 src1_sel:DWORD
	v_mul_lo_u16_e32 v20, 3, v109
	v_lshrrev_b32_e32 v113, 17, v24
	v_sub_u16_e32 v110, v62, v20
	v_mov_b32_e32 v20, 5
	v_mul_lo_u16_e32 v24, 3, v113
	v_lshlrev_b32_sdwa v75, v20, v110 dst_sel:DWORD dst_unused:UNUSED_PAD src0_sel:DWORD src1_sel:BYTE_0
	v_sub_u16_e32 v114, v63, v24
	s_waitcnt lgkmcnt(0)
	s_barrier
	global_load_dwordx4 v[20:23], v75, s[8:9]
	v_lshlrev_b32_e32 v52, 5, v114
	global_load_dwordx4 v[24:27], v52, s[8:9]
	global_load_dwordx4 v[28:31], v52, s[8:9] offset:16
	v_mul_u32_u24_sdwa v52, v64, s0 dst_sel:DWORD dst_unused:UNUSED_PAD src0_sel:WORD_0 src1_sel:DWORD
	v_lshrrev_b32_e32 v115, 17, v52
	v_mul_lo_u16_e32 v52, 3, v115
	v_sub_u16_e32 v116, v64, v52
	v_lshlrev_b32_e32 v67, 5, v116
	global_load_dwordx4 v[52:55], v67, s[8:9] offset:16
	global_load_dwordx4 v[56:59], v67, s[8:9]
	v_mul_u32_u24_sdwa v67, v65, s0 dst_sel:DWORD dst_unused:UNUSED_PAD src0_sel:WORD_0 src1_sel:DWORD
	v_lshrrev_b32_e32 v117, 17, v67
	v_mul_lo_u16_e32 v67, 3, v117
	v_sub_u16_e32 v118, v65, v67
	v_lshlrev_b32_e32 v87, 5, v118
	global_load_dwordx4 v[67:70], v87, s[8:9]
	global_load_dwordx4 v[71:74], v75, s[8:9] offset:16
	v_mul_u32_u24_sdwa v75, v66, s0 dst_sel:DWORD dst_unused:UNUSED_PAD src0_sel:WORD_0 src1_sel:DWORD
	v_lshrrev_b32_e32 v119, 17, v75
	v_mul_lo_u16_e32 v75, 3, v119
	v_sub_u16_e32 v120, v66, v75
	v_lshlrev_b32_e32 v88, 5, v120
	global_load_dwordx4 v[75:78], v88, s[8:9]
	global_load_dwordx4 v[79:82], v87, s[8:9] offset:16
	global_load_dwordx4 v[83:86], v88, s[8:9] offset:16
	ds_read2_b64 v[87:90], v36 offset0:35 offset1:170
	ds_read2_b64 v[91:94], v40 offset0:77 offset1:212
	s_mov_b32 s0, 0xe38f
	s_mov_b32 s10, 0x134454ff
	s_mov_b32 s11, 0xbfee6f0e
	s_mov_b32 s19, 0x3fee6f0e
	s_mov_b32 s18, s10
	s_mov_b32 s17, 0x3fe2cf23
	s_mov_b32 s14, 0x372fe950
	s_mov_b32 s15, 0x3fd3c6ef
	s_movk_i32 s20, 0x6d
	s_waitcnt vmcnt(9) lgkmcnt(1)
	v_mul_f64 v[103:104], v[87:88], v[22:23]
	v_mul_f64 v[22:23], v[0:1], v[22:23]
	s_waitcnt vmcnt(8)
	v_mul_f64 v[105:106], v[89:90], v[26:27]
	v_mul_f64 v[26:27], v[2:3], v[26:27]
	s_waitcnt vmcnt(7) lgkmcnt(0)
	v_mul_f64 v[107:108], v[91:92], v[30:31]
	v_fma_f64 v[103:104], v[0:1], v[20:21], v[103:104]
	v_fma_f64 v[20:21], v[87:88], v[20:21], -v[22:23]
	v_fma_f64 v[87:88], v[2:3], v[24:25], v[105:106]
	v_mul_f64 v[22:23], v[8:9], v[30:31]
	ds_read2_b64 v[0:3], v41 offset0:49 offset1:184
	s_waitcnt vmcnt(6)
	v_mul_f64 v[30:31], v[93:94], v[54:55]
	v_fma_f64 v[26:27], v[89:90], v[24:25], -v[26:27]
	v_mul_f64 v[24:25], v[10:11], v[54:55]
	v_fma_f64 v[89:90], v[8:9], v[28:29], v[107:108]
	s_waitcnt vmcnt(5) lgkmcnt(0)
	v_mul_f64 v[54:55], v[0:1], v[58:59]
	v_mul_f64 v[58:59], v[12:13], v[58:59]
	v_fma_f64 v[28:29], v[91:92], v[28:29], -v[22:23]
	s_waitcnt vmcnt(4)
	v_mul_f64 v[22:23], v[14:15], v[69:70]
	v_fma_f64 v[30:31], v[10:11], v[52:53], v[30:31]
	ds_read2_b64 v[8:11], v43 offset0:63 offset1:198
	v_mul_f64 v[105:106], v[2:3], v[69:70]
	v_fma_f64 v[91:92], v[93:94], v[52:53], -v[24:25]
	s_waitcnt vmcnt(3)
	v_mul_f64 v[24:25], v[6:7], v[73:74]
	v_fma_f64 v[58:59], v[0:1], v[56:57], -v[58:59]
	s_waitcnt lgkmcnt(0)
	v_mul_f64 v[0:1], v[10:11], v[73:74]
	v_fma_f64 v[73:74], v[2:3], v[67:68], -v[22:23]
	s_waitcnt vmcnt(2)
	v_mul_f64 v[2:3], v[8:9], v[77:78]
	v_fma_f64 v[93:94], v[12:13], v[56:57], v[54:55]
	v_fma_f64 v[105:106], v[14:15], v[67:68], v[105:106]
	ds_read2_b64 v[12:15], v47 offset0:91 offset1:226
	v_mul_f64 v[22:23], v[4:5], v[77:78]
	v_fma_f64 v[10:11], v[10:11], v[71:72], -v[24:25]
	v_fma_f64 v[0:1], v[6:7], v[71:72], v[0:1]
	s_waitcnt vmcnt(1)
	v_mul_f64 v[54:55], v[16:17], v[81:82]
	s_waitcnt lgkmcnt(0)
	v_mul_f64 v[52:53], v[12:13], v[81:82]
	s_waitcnt vmcnt(0)
	v_mul_f64 v[6:7], v[14:15], v[85:86]
	v_fma_f64 v[77:78], v[4:5], v[75:76], v[2:3]
	v_mul_f64 v[24:25], v[18:19], v[85:86]
	v_fma_f64 v[75:76], v[8:9], v[75:76], -v[22:23]
	v_add_f64 v[4:5], v[32:33], v[103:104]
	v_add_f64 v[2:3], v[103:104], v[0:1]
	;; [unrolled: 1-line block ×3, first 2 shown]
	v_fma_f64 v[81:82], v[16:17], v[79:80], v[52:53]
	v_mov_b32_e32 v52, 3
	v_fma_f64 v[85:86], v[18:19], v[83:84], v[6:7]
	v_mul_u32_u24_e32 v6, 0x48, v109
	v_lshlrev_b32_sdwa v7, v52, v110 dst_sel:DWORD dst_unused:UNUSED_PAD src0_sel:DWORD src1_sel:BYTE_0
	v_add3_u32 v67, 0, v6, v7
	v_fma_f64 v[2:3], v[2:3], -0.5, v[32:33]
	v_add_f64 v[6:7], v[20:21], -v[10:11]
	v_fma_f64 v[83:84], v[14:15], v[83:84], -v[24:25]
	v_add_f64 v[4:5], v[4:5], v[0:1]
	v_add_f64 v[16:17], v[26:27], -v[28:29]
	v_add_f64 v[18:19], v[93:94], v[30:31]
	v_fma_f64 v[79:80], v[12:13], v[79:80], -v[54:55]
	ds_read_b64 v[12:13], v39
	ds_read_b64 v[32:33], v48
	;; [unrolled: 1-line block ×5, first 2 shown]
	s_waitcnt lgkmcnt(0)
	v_fma_f64 v[14:15], v[6:7], s[4:5], v[2:3]
	v_fma_f64 v[2:3], v[6:7], s[6:7], v[2:3]
	v_fma_f64 v[6:7], v[8:9], -0.5, v[95:96]
	v_add_f64 v[8:9], v[95:96], v[87:88]
	s_barrier
	ds_write2_b64 v67, v[4:5], v[14:15] offset1:3
	ds_write_b64 v67, v[2:3] offset:48
	v_add_f64 v[14:15], v[97:98], v[93:94]
	v_fma_f64 v[4:5], v[16:17], s[4:5], v[6:7]
	v_add_f64 v[2:3], v[8:9], v[89:90]
	v_fma_f64 v[6:7], v[16:17], s[6:7], v[6:7]
	v_fma_f64 v[8:9], v[18:19], -0.5, v[97:98]
	v_add_f64 v[16:17], v[58:59], -v[91:92]
	v_add_f64 v[18:19], v[105:106], v[81:82]
	v_mul_u32_u24_e32 v22, 0x48, v113
	v_lshlrev_b32_e32 v23, 3, v114
	v_add3_u32 v113, 0, v22, v23
	ds_write2_b64 v113, v[2:3], v[4:5] offset1:3
	ds_write_b64 v113, v[6:7] offset:48
	v_add_f64 v[2:3], v[14:15], v[30:31]
	v_add_f64 v[14:15], v[99:100], v[105:106]
	v_fma_f64 v[4:5], v[16:17], s[4:5], v[8:9]
	v_fma_f64 v[6:7], v[18:19], -0.5, v[99:100]
	v_add_f64 v[18:19], v[73:74], -v[79:80]
	v_mul_u32_u24_e32 v24, 0x48, v115
	v_lshlrev_b32_e32 v25, 3, v116
	v_fma_f64 v[8:9], v[16:17], s[6:7], v[8:9]
	v_add3_u32 v114, 0, v24, v25
	v_add_f64 v[16:17], v[101:102], v[77:78]
	ds_write2_b64 v114, v[2:3], v[4:5] offset1:3
	v_add_f64 v[2:3], v[14:15], v[81:82]
	v_fma_f64 v[4:5], v[18:19], s[4:5], v[6:7]
	v_add_f64 v[22:23], v[77:78], v[85:86]
	v_fma_f64 v[6:7], v[18:19], s[6:7], v[6:7]
	ds_write_b64 v114, v[8:9] offset:48
	v_mul_u32_u24_e32 v8, 0x48, v117
	v_lshlrev_b32_e32 v9, 3, v118
	v_add3_u32 v115, 0, v8, v9
	v_add_f64 v[8:9], v[12:13], v[20:21]
	ds_write2_b64 v115, v[2:3], v[4:5] offset1:3
	v_add_f64 v[2:3], v[16:17], v[85:86]
	v_add_f64 v[16:17], v[20:21], v[10:11]
	v_fma_f64 v[14:15], v[22:23], -0.5, v[101:102]
	v_add_f64 v[22:23], v[75:76], -v[83:84]
	v_add_f64 v[97:98], v[103:104], -v[0:1]
	v_add_f64 v[99:100], v[26:27], v[28:29]
	ds_write_b64 v115, v[6:7] offset:48
	v_add_f64 v[20:21], v[8:9], v[10:11]
	v_add_f64 v[26:27], v[32:33], v[26:27]
	v_fma_f64 v[95:96], v[16:17], -0.5, v[12:13]
	v_add_f64 v[87:88], v[87:88], -v[89:90]
	v_fma_f64 v[4:5], v[22:23], s[4:5], v[14:15]
	v_fma_f64 v[6:7], v[22:23], s[6:7], v[14:15]
	v_fma_f64 v[32:33], v[99:100], -0.5, v[32:33]
	v_mul_u32_u24_e32 v14, 0x48, v119
	v_lshlrev_b32_e32 v15, 3, v120
	v_add3_u32 v118, 0, v14, v15
	v_fma_f64 v[101:102], v[97:98], s[6:7], v[95:96]
	v_add_u32_e32 v56, 0x3000, v39
	ds_write2_b64 v118, v[2:3], v[4:5] offset1:3
	ds_write_b64 v118, v[6:7] offset:48
	s_waitcnt lgkmcnt(0)
	s_barrier
	v_add_u32_e32 v57, 0x1800, v39
	v_add_u32_e32 v54, 0x2000, v39
	;; [unrolled: 1-line block ×4, first 2 shown]
	ds_read_b64 v[8:9], v39
	ds_read_b64 v[116:117], v50
	ds_read_b64 v[4:5], v49
	ds_read_b64 v[6:7], v48
	ds_read_b64 v[18:19], v39 offset:15120
	ds_read2_b64 v[10:13], v57 offset0:42 offset1:177
	ds_read2_b64 v[14:17], v54 offset0:56 offset1:191
	;; [unrolled: 1-line block ×5, first 2 shown]
	s_waitcnt lgkmcnt(0)
	s_barrier
	ds_write2_b64 v67, v[20:21], v[101:102] offset1:3
	v_add_f64 v[20:21], v[58:59], v[91:92]
	v_add_f64 v[26:27], v[26:27], v[28:29]
	;; [unrolled: 1-line block ×3, first 2 shown]
	v_fma_f64 v[89:90], v[87:88], s[6:7], v[32:33]
	v_fma_f64 v[32:33], v[87:88], s[4:5], v[32:33]
	v_add_f64 v[87:88], v[75:76], v[83:84]
	v_add_f64 v[58:59], v[107:108], v[58:59]
	v_add_f64 v[30:31], v[93:94], -v[30:31]
	v_fma_f64 v[20:21], v[20:21], -0.5, v[107:108]
	v_add_f64 v[72:73], v[109:110], v[73:74]
	v_fma_f64 v[28:29], v[28:29], -0.5, v[109:110]
	v_add_f64 v[81:82], v[105:106], -v[81:82]
	v_add_f64 v[74:75], v[111:112], v[75:76]
	v_fma_f64 v[87:88], v[87:88], -0.5, v[111:112]
	v_add_f64 v[76:77], v[77:78], -v[85:86]
	v_fma_f64 v[95:96], v[97:98], s[4:5], v[95:96]
	v_add_f64 v[58:59], v[58:59], v[91:92]
	v_fma_f64 v[85:86], v[30:31], s[6:7], v[20:21]
	v_fma_f64 v[20:21], v[30:31], s[4:5], v[20:21]
	v_add_f64 v[30:31], v[72:73], v[79:80]
	v_fma_f64 v[72:73], v[81:82], s[6:7], v[28:29]
	;; [unrolled: 3-line block ×3, first 2 shown]
	v_fma_f64 v[76:77], v[76:77], s[4:5], v[87:88]
	ds_write_b64 v67, v[95:96] offset:48
	ds_write2_b64 v113, v[26:27], v[89:90] offset1:3
	ds_write_b64 v113, v[32:33] offset:48
	ds_write2_b64 v114, v[58:59], v[85:86] offset1:3
	;; [unrolled: 2-line block ×4, first 2 shown]
	ds_write_b64 v118, v[76:77] offset:48
	v_mov_b32_e32 v20, 57
	v_mul_lo_u16_sdwa v20, v62, v20 dst_sel:DWORD dst_unused:UNUSED_PAD src0_sel:BYTE_0 src1_sel:DWORD
	v_lshrrev_b16_e32 v122, 9, v20
	v_mul_lo_u16_e32 v20, 9, v122
	v_sub_u16_e32 v123, v62, v20
	v_mov_b32_e32 v58, 6
	v_lshlrev_b32_sdwa v20, v58, v123 dst_sel:DWORD dst_unused:UNUSED_PAD src0_sel:DWORD src1_sel:BYTE_0
	s_waitcnt lgkmcnt(0)
	s_barrier
	global_load_dwordx4 v[26:29], v20, s[8:9] offset:112
	v_mul_u32_u24_sdwa v21, v63, s0 dst_sel:DWORD dst_unused:UNUSED_PAD src0_sel:WORD_0 src1_sel:DWORD
	v_lshrrev_b32_e32 v124, 19, v21
	v_mul_lo_u16_e32 v21, 9, v124
	v_sub_u16_e32 v67, v63, v21
	v_lshlrev_b32_e32 v21, 6, v67
	global_load_dwordx4 v[30:33], v21, s[8:9] offset:112
	global_load_dwordx4 v[72:75], v20, s[8:9] offset:144
	global_load_dwordx4 v[76:79], v21, s[8:9] offset:144
	global_load_dwordx4 v[80:83], v21, s[8:9] offset:96
	v_mul_u32_u24_sdwa v59, v64, s0 dst_sel:DWORD dst_unused:UNUSED_PAD src0_sel:WORD_0 src1_sel:DWORD
	v_lshrrev_b32_e32 v125, 19, v59
	v_mul_lo_u16_e32 v59, 9, v125
	v_sub_u16_e32 v59, v64, v59
	v_lshlrev_b32_e32 v112, 6, v59
	global_load_dwordx4 v[84:87], v112, s[8:9] offset:96
	global_load_dwordx4 v[88:91], v20, s[8:9] offset:128
	;; [unrolled: 1-line block ×7, first 2 shown]
	ds_read2_b64 v[112:115], v57 offset0:42 offset1:177
	s_mov_b32 s0, 0x4755a5e
	s_mov_b32 s1, 0xbfe2cf23
	;; [unrolled: 1-line block ×3, first 2 shown]
	v_lshlrev_b32_e32 v67, 3, v67
	v_lshlrev_b32_e32 v59, 3, v59
	s_waitcnt vmcnt(11) lgkmcnt(0)
	v_mul_f64 v[20:21], v[112:113], v[28:29]
	v_mul_f64 v[28:29], v[10:11], v[28:29]
	s_waitcnt vmcnt(10)
	v_mul_f64 v[118:119], v[114:115], v[32:33]
	v_fma_f64 v[120:121], v[10:11], v[26:27], v[20:21]
	v_mul_f64 v[20:21], v[12:13], v[32:33]
	v_fma_f64 v[112:113], v[112:113], v[26:27], -v[28:29]
	v_fma_f64 v[26:27], v[12:13], v[30:31], v[118:119]
	ds_read2_b64 v[10:13], v56 offset0:84 offset1:219
	v_fma_f64 v[20:21], v[114:115], v[30:31], -v[20:21]
	s_waitcnt vmcnt(9)
	v_mul_f64 v[30:31], v[22:23], v[74:75]
	s_waitcnt lgkmcnt(0)
	v_mul_f64 v[28:29], v[10:11], v[74:75]
	s_waitcnt vmcnt(8)
	v_mul_f64 v[32:33], v[12:13], v[78:79]
	v_fma_f64 v[118:119], v[10:11], v[72:73], -v[30:31]
	v_mul_f64 v[10:11], v[24:25], v[78:79]
	v_fma_f64 v[114:115], v[22:23], v[72:73], v[28:29]
	ds_read2_b64 v[72:75], v55 offset0:28 offset1:163
	v_fma_f64 v[30:31], v[24:25], v[76:77], v[32:33]
	s_waitcnt vmcnt(7)
	v_mul_f64 v[28:29], v[68:69], v[82:83]
	s_waitcnt lgkmcnt(0)
	v_mul_f64 v[24:25], v[72:73], v[82:83]
	v_fma_f64 v[22:23], v[12:13], v[76:77], -v[10:11]
	s_waitcnt vmcnt(6)
	v_mul_f64 v[10:11], v[70:71], v[86:87]
	v_mul_f64 v[82:83], v[74:75], v[86:87]
	ds_read2_b64 v[76:79], v54 offset0:56 offset1:191
	s_waitcnt vmcnt(3)
	v_mul_f64 v[86:87], v[0:1], v[98:99]
	v_fma_f64 v[32:33], v[68:69], v[80:81], v[24:25]
	v_fma_f64 v[24:25], v[72:73], v[80:81], -v[28:29]
	s_waitcnt lgkmcnt(0)
	v_mul_f64 v[28:29], v[78:79], v[90:91]
	v_mul_f64 v[72:73], v[16:17], v[90:91]
	v_fma_f64 v[10:11], v[74:75], v[84:85], -v[10:11]
	v_mul_f64 v[74:75], v[76:77], v[94:95]
	v_fma_f64 v[12:13], v[70:71], v[84:85], v[82:83]
	ds_read2_b64 v[68:71], v53 offset0:70 offset1:205
	ds_read_b64 v[82:83], v50
	v_mul_f64 v[80:81], v[14:15], v[94:95]
	v_fma_f64 v[90:91], v[16:17], v[88:89], v[28:29]
	v_fma_f64 v[88:89], v[78:79], v[88:89], -v[72:73]
	s_waitcnt lgkmcnt(1)
	v_mul_f64 v[84:85], v[68:69], v[98:99]
	s_waitcnt vmcnt(2)
	v_mul_f64 v[78:79], v[116:117], v[102:103]
	v_fma_f64 v[16:17], v[14:15], v[92:93], v[74:75]
	ds_read_b64 v[74:75], v39 offset:15120
	s_waitcnt lgkmcnt(1)
	v_mul_f64 v[72:73], v[82:83], v[102:103]
	v_fma_f64 v[14:15], v[76:77], v[92:93], -v[80:81]
	v_fma_f64 v[28:29], v[68:69], v[96:97], -v[86:87]
	v_add_f64 v[76:77], v[120:121], v[90:91]
	v_fma_f64 v[92:93], v[0:1], v[96:97], v[84:85]
	s_waitcnt vmcnt(1)
	v_mul_f64 v[0:1], v[70:71], v[106:107]
	v_fma_f64 v[79:80], v[82:83], v[100:101], -v[78:79]
	s_waitcnt vmcnt(0) lgkmcnt(0)
	v_mul_f64 v[83:84], v[74:75], v[110:111]
	v_fma_f64 v[72:73], v[116:117], v[100:101], v[72:73]
	v_mul_f64 v[85:86], v[18:19], v[110:111]
	v_mul_f64 v[68:69], v[2:3], v[106:107]
	v_add_f64 v[100:101], v[114:115], -v[90:91]
	v_mul_u32_u24_e32 v78, 0x168, v122
	v_fma_f64 v[106:107], v[2:3], v[104:105], v[0:1]
	v_fma_f64 v[0:1], v[76:77], -0.5, v[8:9]
	v_add_f64 v[2:3], v[79:80], -v[118:119]
	v_fma_f64 v[18:19], v[18:19], v[108:109], v[83:84]
	v_fma_f64 v[108:109], v[74:75], v[108:109], -v[85:86]
	v_add_f64 v[74:75], v[72:73], v[114:115]
	v_add_f64 v[98:99], v[72:73], -v[120:121]
	v_add_f64 v[102:103], v[8:9], v[72:73]
	v_add_f64 v[83:84], v[112:113], -v[88:89]
	v_lshlrev_b32_sdwa v85, v52, v123 dst_sel:DWORD dst_unused:UNUSED_PAD src0_sel:DWORD src1_sel:BYTE_0
	v_fma_f64 v[76:77], v[2:3], s[10:11], v[0:1]
	v_fma_f64 v[104:105], v[70:71], v[104:105], -v[68:69]
	v_add3_u32 v126, 0, v78, v85
	v_fma_f64 v[8:9], v[74:75], -0.5, v[8:9]
	v_add_f64 v[68:69], v[98:99], v[100:101]
	v_add_f64 v[70:71], v[102:103], v[120:121]
	v_add_f64 v[85:86], v[90:91], -v[114:115]
	v_fma_f64 v[0:1], v[2:3], s[18:19], v[0:1]
	v_fma_f64 v[74:75], v[83:84], s[0:1], v[76:77]
	v_add_f64 v[76:77], v[120:121], -v[72:73]
	v_add_f64 v[100:101], v[6:7], v[32:33]
	v_fma_f64 v[98:99], v[83:84], s[18:19], v[8:9]
	v_fma_f64 v[8:9], v[83:84], s[10:11], v[8:9]
	v_add_f64 v[70:71], v[70:71], v[90:91]
	v_add_f64 v[102:103], v[24:25], -v[22:23]
	v_fma_f64 v[0:1], v[83:84], s[16:17], v[0:1]
	ds_read_b64 v[94:95], v49
	ds_read_b64 v[96:97], v48
	;; [unrolled: 1-line block ×3, first 2 shown]
	v_add_f64 v[76:77], v[76:77], v[85:86]
	s_waitcnt lgkmcnt(0)
	v_fma_f64 v[85:86], v[2:3], s[0:1], v[98:99]
	v_fma_f64 v[8:9], v[2:3], s[16:17], v[8:9]
	v_fma_f64 v[2:3], v[68:69], s[14:15], v[74:75]
	v_add_f64 v[74:75], v[26:27], v[92:93]
	v_add_f64 v[70:71], v[70:71], v[114:115]
	v_fma_f64 v[0:1], v[68:69], s[14:15], v[0:1]
	v_add_f64 v[68:69], v[100:101], v[26:27]
	s_barrier
	v_fma_f64 v[85:86], v[76:77], s[14:15], v[85:86]
	v_fma_f64 v[8:9], v[76:77], s[14:15], v[8:9]
	v_add_f64 v[76:77], v[32:33], v[30:31]
	v_fma_f64 v[74:75], v[74:75], -0.5, v[6:7]
	v_add_f64 v[83:84], v[32:33], -v[26:27]
	v_add_f64 v[98:99], v[30:31], -v[92:93]
	ds_write2_b64 v126, v[70:71], v[2:3] offset1:9
	v_add_f64 v[2:3], v[20:21], -v[28:29]
	ds_write_b64 v126, v[0:1] offset:288
	v_fma_f64 v[6:7], v[76:77], -0.5, v[6:7]
	v_fma_f64 v[70:71], v[102:103], s[10:11], v[74:75]
	v_add_f64 v[0:1], v[68:69], v[92:93]
	v_fma_f64 v[68:69], v[102:103], s[18:19], v[74:75]
	ds_write2_b64 v126, v[85:86], v[8:9] offset0:18 offset1:27
	v_add_f64 v[8:9], v[83:84], v[98:99]
	v_add_f64 v[76:77], v[26:27], -v[32:33]
	v_add_f64 v[83:84], v[92:93], -v[30:31]
	v_fma_f64 v[85:86], v[2:3], s[18:19], v[6:7]
	v_fma_f64 v[6:7], v[2:3], s[10:11], v[6:7]
	;; [unrolled: 1-line block ×4, first 2 shown]
	v_mul_u32_u24_e32 v78, 0x168, v124
	v_add3_u32 v124, 0, v78, v67
	v_add_f64 v[0:1], v[0:1], v[30:31]
	v_add_f64 v[74:75], v[76:77], v[83:84]
	v_fma_f64 v[76:77], v[102:103], s[0:1], v[85:86]
	v_fma_f64 v[6:7], v[102:103], s[16:17], v[6:7]
	;; [unrolled: 1-line block ×3, first 2 shown]
	v_add_f64 v[69:70], v[16:17], v[106:107]
	v_fma_f64 v[2:3], v[8:9], s[14:15], v[2:3]
	v_add_f64 v[8:9], v[12:13], v[18:19]
	v_add_f64 v[85:86], v[4:5], v[12:13]
	v_add_f64 v[98:99], v[10:11], -v[108:109]
	v_fma_f64 v[76:77], v[74:75], s[14:15], v[76:77]
	v_fma_f64 v[6:7], v[74:75], s[14:15], v[6:7]
	v_add_f64 v[74:75], v[12:13], -v[16:17]
	v_fma_f64 v[69:70], v[69:70], -0.5, v[4:5]
	v_add_f64 v[83:84], v[18:19], -v[106:107]
	ds_write2_b64 v124, v[0:1], v[67:68] offset1:9
	ds_write2_b64 v124, v[76:77], v[6:7] offset0:18 offset1:27
	v_add_f64 v[67:68], v[14:15], -v[104:105]
	v_fma_f64 v[4:5], v[8:9], -0.5, v[4:5]
	v_add_f64 v[6:7], v[85:86], v[16:17]
	ds_write_b64 v124, v[2:3] offset:288
	v_fma_f64 v[2:3], v[98:99], s[10:11], v[69:70]
	v_add_f64 v[0:1], v[74:75], v[83:84]
	v_add_f64 v[8:9], v[16:17], -v[12:13]
	v_add_f64 v[74:75], v[106:107], -v[18:19]
	v_fma_f64 v[69:70], v[98:99], s[18:19], v[69:70]
	v_fma_f64 v[83:84], v[67:68], s[18:19], v[4:5]
	;; [unrolled: 1-line block ×3, first 2 shown]
	v_add_f64 v[6:7], v[6:7], v[106:107]
	v_fma_f64 v[2:3], v[67:68], s[0:1], v[2:3]
	v_add_f64 v[100:101], v[72:73], -v[114:115]
	v_add_f64 v[71:72], v[81:82], v[79:80]
	v_add_f64 v[8:9], v[8:9], v[74:75]
	v_fma_f64 v[67:68], v[67:68], s[16:17], v[69:70]
	v_fma_f64 v[73:74], v[98:99], s[0:1], v[83:84]
	;; [unrolled: 1-line block ×3, first 2 shown]
	v_add_f64 v[6:7], v[6:7], v[18:19]
	v_fma_f64 v[2:3], v[0:1], s[14:15], v[2:3]
	v_mul_u32_u24_e32 v85, 0x168, v125
	v_add3_u32 v59, 0, v85, v59
	v_add_f64 v[71:72], v[71:72], v[112:113]
	v_fma_f64 v[0:1], v[0:1], s[14:15], v[67:68]
	v_fma_f64 v[73:74], v[8:9], s[14:15], v[73:74]
	;; [unrolled: 1-line block ×3, first 2 shown]
	ds_write2_b64 v59, v[6:7], v[2:3] offset1:9
	ds_write2_b64 v59, v[73:74], v[4:5] offset0:18 offset1:27
	ds_write_b64 v59, v[0:1] offset:288
	v_add_f64 v[0:1], v[79:80], v[118:119]
	v_add_f64 v[76:77], v[112:113], v[88:89]
	v_add_f64 v[90:91], v[120:121], -v[90:91]
	v_add_f64 v[67:68], v[71:72], v[88:89]
	v_add_f64 v[69:70], v[79:80], -v[112:113]
	v_add_f64 v[112:113], v[112:113], -v[79:80]
	;; [unrolled: 1-line block ×3, first 2 shown]
	v_add_f64 v[32:33], v[96:97], v[24:25]
	v_fma_f64 v[114:115], v[0:1], -0.5, v[81:82]
	v_fma_f64 v[102:103], v[76:77], -0.5, v[81:82]
	v_add_f64 v[75:76], v[118:119], -v[88:89]
	v_add_f64 v[98:99], v[67:68], v[118:119]
	v_add_f64 v[87:88], v[88:89], -v[118:119]
	v_add_f64 v[118:119], v[20:21], v[28:29]
	;; [unrolled: 2-line block ×3, first 2 shown]
	v_fma_f64 v[116:117], v[90:91], s[10:11], v[114:115]
	v_fma_f64 v[114:115], v[90:91], s[18:19], v[114:115]
	;; [unrolled: 1-line block ×3, first 2 shown]
	v_add_f64 v[32:33], v[32:33], v[20:21]
	v_add_f64 v[87:88], v[112:113], v[87:88]
	;; [unrolled: 1-line block ×3, first 2 shown]
	v_add_f64 v[12:13], v[12:13], -v[18:19]
	v_fma_f64 v[92:93], v[92:93], -0.5, v[96:97]
	v_fma_f64 v[112:113], v[100:101], s[16:17], v[116:117]
	v_fma_f64 v[116:117], v[118:119], -0.5, v[96:97]
	v_fma_f64 v[114:115], v[100:101], s[0:1], v[114:115]
	v_fma_f64 v[100:101], v[100:101], s[10:11], v[102:103]
	v_add_f64 v[102:103], v[24:25], -v[20:21]
	v_add_f64 v[118:119], v[22:23], -v[28:29]
	v_fma_f64 v[69:70], v[90:91], s[16:17], v[77:78]
	v_add_f64 v[32:33], v[32:33], v[28:29]
	v_add_f64 v[20:21], v[20:21], -v[24:25]
	v_fma_f64 v[122:123], v[30:31], s[18:19], v[116:117]
	v_add_f64 v[24:25], v[28:29], -v[22:23]
	v_fma_f64 v[89:90], v[90:91], s[0:1], v[100:101]
	v_fma_f64 v[28:29], v[26:27], s[10:11], v[92:93]
	v_add_f64 v[96:97], v[102:103], v[118:119]
	v_fma_f64 v[110:111], v[8:9], s[14:15], v[69:70]
	v_fma_f64 v[91:92], v[26:27], s[18:19], v[92:93]
	v_add_f64 v[22:23], v[32:33], v[22:23]
	v_fma_f64 v[100:101], v[26:27], s[16:17], v[122:123]
	v_add_f64 v[20:21], v[20:21], v[24:25]
	;; [unrolled: 2-line block ×3, first 2 shown]
	v_fma_f64 v[24:25], v[30:31], s[16:17], v[28:29]
	v_add_f64 v[16:17], v[16:17], -v[106:107]
	v_fma_f64 v[28:29], v[30:31], s[0:1], v[91:92]
	v_add_f64 v[91:92], v[94:95], v[10:11]
	v_fma_f64 v[32:33], v[96:97], s[14:15], v[100:101]
	v_add_f64 v[100:101], v[14:15], v[104:105]
	v_fma_f64 v[30:31], v[30:31], s[10:11], v[116:117]
	v_fma_f64 v[18:19], v[89:90], -0.5, v[94:95]
	s_waitcnt lgkmcnt(0)
	s_barrier
	v_add_f64 v[91:92], v[91:92], v[14:15]
	ds_read_b64 v[4:5], v39
	ds_read_b64 v[120:121], v50
	v_fma_f64 v[89:90], v[100:101], -0.5, v[94:95]
	v_add_f64 v[93:94], v[10:11], -v[14:15]
	v_add_f64 v[100:101], v[108:109], -v[104:105]
	;; [unrolled: 1-line block ×4, first 2 shown]
	v_fma_f64 v[102:103], v[16:17], s[10:11], v[18:19]
	v_fma_f64 v[18:19], v[16:17], s[18:19], v[18:19]
	v_fma_f64 v[26:27], v[26:27], s[0:1], v[30:31]
	v_fma_f64 v[106:107], v[12:13], s[18:19], v[89:90]
	v_fma_f64 v[89:90], v[12:13], s[10:11], v[89:90]
	v_add_f64 v[30:31], v[93:94], v[100:101]
	v_add_f64 v[91:92], v[91:92], v[104:105]
	;; [unrolled: 1-line block ×3, first 2 shown]
	v_fma_f64 v[14:15], v[12:13], s[16:17], v[102:103]
	v_fma_f64 v[12:13], v[12:13], s[0:1], v[18:19]
	ds_read_b64 v[0:1], v49
	ds_read_b64 v[2:3], v48
	ds_read_b64 v[6:7], v39 offset:15120
	ds_read2_b64 v[67:70], v57 offset0:42 offset1:177
	ds_read2_b64 v[71:74], v54 offset0:56 offset1:191
	;; [unrolled: 1-line block ×3, first 2 shown]
	v_fma_f64 v[93:94], v[16:17], s[16:17], v[106:107]
	v_fma_f64 v[16:17], v[16:17], s[0:1], v[89:90]
	ds_read2_b64 v[79:82], v55 offset0:28 offset1:163
	ds_read2_b64 v[83:86], v53 offset0:70 offset1:205
	s_waitcnt lgkmcnt(0)
	s_barrier
	ds_write2_b64 v126, v[98:99], v[110:111] offset1:9
	v_fma_f64 v[98:99], v[87:88], s[14:15], v[112:113]
	v_fma_f64 v[87:88], v[87:88], s[14:15], v[114:115]
	;; [unrolled: 1-line block ×5, first 2 shown]
	v_add_f64 v[26:27], v[91:92], v[108:109]
	v_fma_f64 v[28:29], v[30:31], s[14:15], v[93:94]
	v_fma_f64 v[14:15], v[10:11], s[14:15], v[14:15]
	;; [unrolled: 1-line block ×4, first 2 shown]
	ds_write2_b64 v126, v[98:99], v[87:88] offset0:18 offset1:27
	ds_write_b64 v126, v[8:9] offset:288
	ds_write2_b64 v124, v[22:23], v[32:33] offset1:9
	ds_write2_b64 v124, v[18:19], v[20:21] offset0:18 offset1:27
	ds_write_b64 v124, v[24:25] offset:288
	ds_write2_b64 v59, v[26:27], v[28:29] offset1:9
	ds_write2_b64 v59, v[14:15], v[10:11] offset0:18 offset1:27
	ds_write_b64 v59, v[12:13] offset:288
	v_mul_lo_u16_sdwa v8, v62, s20 dst_sel:DWORD dst_unused:UNUSED_PAD src0_sel:BYTE_0 src1_sel:DWORD
	v_sub_u16_sdwa v9, v62, v8 dst_sel:DWORD dst_unused:UNUSED_PAD src0_sel:DWORD src1_sel:BYTE_1
	v_lshrrev_b16_e32 v9, 1, v9
	v_and_b32_e32 v9, 0x7f, v9
	v_add_u16_sdwa v8, v9, v8 dst_sel:DWORD dst_unused:UNUSED_PAD src0_sel:DWORD src1_sel:BYTE_1
	v_lshrrev_b16_e32 v59, 5, v8
	v_mul_lo_u16_e32 v8, 45, v59
	v_sub_u16_e32 v119, v62, v8
	v_lshlrev_b32_sdwa v24, v58, v119 dst_sel:DWORD dst_unused:UNUSED_PAD src0_sel:DWORD src1_sel:BYTE_0
	s_waitcnt lgkmcnt(0)
	s_barrier
	global_load_dwordx4 v[8:11], v24, s[8:9] offset:688
	s_movk_i32 s20, 0x2d83
	v_mul_u32_u24_sdwa v12, v63, s20 dst_sel:DWORD dst_unused:UNUSED_PAD src0_sel:WORD_0 src1_sel:DWORD
	v_lshrrev_b32_e32 v124, 19, v12
	v_mul_lo_u16_e32 v12, 45, v124
	v_sub_u16_e32 v125, v63, v12
	v_lshlrev_b32_e32 v25, 6, v125
	global_load_dwordx4 v[12:15], v25, s[8:9] offset:688
	global_load_dwordx4 v[16:19], v24, s[8:9] offset:720
	;; [unrolled: 1-line block ×4, first 2 shown]
	v_mul_u32_u24_sdwa v26, v64, s20 dst_sel:DWORD dst_unused:UNUSED_PAD src0_sel:WORD_0 src1_sel:DWORD
	v_lshrrev_b32_e32 v126, 19, v26
	v_mul_lo_u16_e32 v26, 45, v126
	v_sub_u16_e32 v127, v64, v26
	v_lshlrev_b32_e32 v26, 6, v127
	global_load_dwordx4 v[91:94], v26, s[8:9] offset:672
	global_load_dwordx4 v[95:98], v24, s[8:9] offset:704
	;; [unrolled: 1-line block ×7, first 2 shown]
	ds_read2_b64 v[24:27], v57 offset0:42 offset1:177
	v_lshlrev_b32_sdwa v52, v52, v119 dst_sel:DWORD dst_unused:UNUSED_PAD src0_sel:DWORD src1_sel:BYTE_0
	v_mul_u32_u24_e32 v59, 0x708, v59
	s_waitcnt vmcnt(11) lgkmcnt(0)
	v_mul_f64 v[28:29], v[24:25], v[10:11]
	v_mul_f64 v[10:11], v[67:68], v[10:11]
	s_waitcnt vmcnt(10)
	v_mul_f64 v[30:31], v[26:27], v[14:15]
	v_mul_f64 v[14:15], v[69:70], v[14:15]
	v_fma_f64 v[67:68], v[67:68], v[8:9], v[28:29]
	v_fma_f64 v[122:123], v[24:25], v[8:9], -v[10:11]
	ds_read2_b64 v[8:11], v56 offset0:84 offset1:219
	ds_read2_b64 v[55:58], v55 offset0:28 offset1:163
	v_fma_f64 v[24:25], v[69:70], v[12:13], v[30:31]
	v_fma_f64 v[12:13], v[26:27], v[12:13], -v[14:15]
	s_waitcnt vmcnt(9) lgkmcnt(1)
	v_mul_f64 v[14:15], v[8:9], v[18:19]
	v_mul_f64 v[18:19], v[75:76], v[18:19]
	s_waitcnt vmcnt(8)
	v_mul_f64 v[26:27], v[10:11], v[22:23]
	v_mul_f64 v[22:23], v[77:78], v[22:23]
	v_fma_f64 v[69:70], v[75:76], v[16:17], v[14:15]
	v_fma_f64 v[75:76], v[8:9], v[16:17], -v[18:19]
	ds_read2_b64 v[14:17], v54 offset0:56 offset1:191
	v_fma_f64 v[18:19], v[10:11], v[20:21], -v[22:23]
	s_waitcnt vmcnt(7)
	v_mul_f64 v[10:11], v[79:80], v[89:90]
	v_fma_f64 v[28:29], v[77:78], v[20:21], v[26:27]
	s_waitcnt lgkmcnt(1)
	v_mul_f64 v[8:9], v[55:56], v[89:90]
	s_waitcnt vmcnt(6)
	v_mul_f64 v[26:27], v[81:82], v[93:94]
	s_waitcnt vmcnt(5) lgkmcnt(0)
	v_mul_f64 v[32:33], v[16:17], v[97:98]
	v_mul_f64 v[20:21], v[57:58], v[93:94]
	v_fma_f64 v[22:23], v[55:56], v[87:88], -v[10:11]
	ds_read2_b64 v[53:56], v53 offset0:70 offset1:205
	v_fma_f64 v[30:31], v[79:80], v[87:88], v[8:9]
	v_fma_f64 v[8:9], v[57:58], v[91:92], -v[26:27]
	v_fma_f64 v[57:58], v[73:74], v[95:96], v[32:33]
	s_waitcnt vmcnt(4)
	v_mul_f64 v[32:33], v[71:72], v[101:102]
	s_waitcnt vmcnt(3) lgkmcnt(0)
	v_mul_f64 v[77:78], v[53:54], v[105:106]
	v_fma_f64 v[10:11], v[81:82], v[91:92], v[20:21]
	v_mul_f64 v[20:21], v[73:74], v[97:98]
	ds_read_b64 v[73:74], v50
	v_mul_f64 v[26:27], v[14:15], v[101:102]
	v_mul_f64 v[79:80], v[83:84], v[105:106]
	s_waitcnt vmcnt(1)
	v_mul_f64 v[91:92], v[120:121], v[113:114]
	v_fma_f64 v[14:15], v[14:15], v[99:100], -v[32:33]
	v_fma_f64 v[32:33], v[83:84], v[103:104], v[77:78]
	ds_read_b64 v[77:78], v39 offset:15120
	s_waitcnt lgkmcnt(1)
	v_mul_f64 v[89:90], v[73:74], v[113:114]
	v_fma_f64 v[87:88], v[16:17], v[95:96], -v[20:21]
	v_fma_f64 v[16:17], v[71:72], v[99:100], v[26:27]
	v_fma_f64 v[26:27], v[53:54], v[103:104], -v[79:80]
	v_mul_f64 v[53:54], v[85:86], v[109:110]
	v_fma_f64 v[73:74], v[73:74], v[111:112], -v[91:92]
	v_add_f64 v[79:80], v[67:68], v[57:58]
	s_waitcnt vmcnt(0)
	v_mul_f64 v[91:92], v[6:7], v[117:118]
	v_fma_f64 v[71:72], v[120:121], v[111:112], v[89:90]
	s_waitcnt lgkmcnt(0)
	v_mul_f64 v[89:90], v[77:78], v[117:118]
	v_add_f64 v[101:102], v[69:70], -v[57:58]
	v_mul_f64 v[81:82], v[55:56], v[109:110]
	v_fma_f64 v[103:104], v[55:56], v[107:108], -v[53:54]
	v_add_f64 v[97:98], v[73:74], -v[75:76]
	v_fma_f64 v[79:80], v[79:80], -0.5, v[4:5]
	v_add_f64 v[53:54], v[122:123], -v[87:88]
	v_add_f64 v[93:94], v[71:72], v[69:70]
	v_add_f64 v[95:96], v[4:5], v[71:72]
	v_add_f64 v[99:100], v[71:72], -v[67:68]
	v_fma_f64 v[89:90], v[6:7], v[115:116], v[89:90]
	v_fma_f64 v[91:92], v[77:78], v[115:116], -v[91:92]
	v_add3_u32 v115, 0, v59, v52
	v_fma_f64 v[55:56], v[97:98], s[10:11], v[79:80]
	v_fma_f64 v[79:80], v[97:98], s[18:19], v[79:80]
	v_fma_f64 v[4:5], v[93:94], -0.5, v[4:5]
	v_add_f64 v[6:7], v[95:96], v[67:68]
	v_add_f64 v[77:78], v[99:100], v[101:102]
	v_add_f64 v[93:94], v[67:68], -v[71:72]
	v_add_f64 v[95:96], v[57:58], -v[69:70]
	v_fma_f64 v[20:21], v[85:86], v[107:108], v[81:82]
	v_fma_f64 v[55:56], v[53:54], s[0:1], v[55:56]
	ds_read_b64 v[81:82], v49
	ds_read_b64 v[83:84], v48
	;; [unrolled: 1-line block ×3, first 2 shown]
	v_fma_f64 v[99:100], v[53:54], s[18:19], v[4:5]
	v_fma_f64 v[4:5], v[53:54], s[10:11], v[4:5]
	v_add_f64 v[6:7], v[6:7], v[57:58]
	s_waitcnt lgkmcnt(0)
	v_add_f64 v[93:94], v[93:94], v[95:96]
	s_barrier
	v_fma_f64 v[55:56], v[77:78], s[14:15], v[55:56]
	v_fma_f64 v[95:96], v[97:98], s[0:1], v[99:100]
	v_fma_f64 v[4:5], v[97:98], s[16:17], v[4:5]
	v_add_f64 v[6:7], v[6:7], v[69:70]
	v_add_f64 v[97:98], v[24:25], v[32:33]
	v_add_f64 v[99:100], v[32:33], -v[28:29]
	v_lshlrev_b32_e32 v59, 3, v125
	v_add_f64 v[105:106], v[122:123], -v[73:74]
	v_add_f64 v[109:110], v[12:13], v[26:27]
	v_fma_f64 v[95:96], v[93:94], s[14:15], v[95:96]
	v_fma_f64 v[4:5], v[93:94], s[14:15], v[4:5]
	v_add_f64 v[93:94], v[30:31], v[28:29]
	ds_write2_b64 v115, v[6:7], v[55:56] offset1:45
	v_fma_f64 v[6:7], v[53:54], s[16:17], v[79:80]
	v_add_f64 v[52:53], v[2:3], v[30:31]
	v_fma_f64 v[54:55], v[97:98], -0.5, v[2:3]
	v_add_f64 v[79:80], v[22:23], -v[18:19]
	v_add_f64 v[97:98], v[24:25], -v[30:31]
	ds_write2_b64 v115, v[95:96], v[4:5] offset0:90 offset1:135
	v_add_f64 v[4:5], v[12:13], -v[26:27]
	v_fma_f64 v[2:3], v[93:94], -0.5, v[2:3]
	v_add_f64 v[93:94], v[30:31], -v[24:25]
	v_add_f64 v[95:96], v[28:29], -v[32:33]
	v_fma_f64 v[6:7], v[77:78], s[14:15], v[6:7]
	v_add_f64 v[52:53], v[52:53], v[24:25]
	v_fma_f64 v[77:78], v[79:80], s[10:11], v[54:55]
	v_fma_f64 v[54:55], v[79:80], s[18:19], v[54:55]
	v_mul_u32_u24_e32 v56, 0x708, v124
	v_fma_f64 v[101:102], v[4:5], s[18:19], v[2:3]
	v_fma_f64 v[2:3], v[4:5], s[10:11], v[2:3]
	v_add_f64 v[93:94], v[93:94], v[95:96]
	ds_write_b64 v115, v[6:7] offset:1440
	v_add_f64 v[6:7], v[52:53], v[32:33]
	v_fma_f64 v[52:53], v[4:5], s[0:1], v[77:78]
	v_add_f64 v[77:78], v[97:98], v[99:100]
	v_fma_f64 v[4:5], v[4:5], s[16:17], v[54:55]
	v_fma_f64 v[95:96], v[79:80], s[0:1], v[101:102]
	;; [unrolled: 1-line block ×3, first 2 shown]
	v_add_f64 v[79:80], v[16:17], v[20:21]
	v_add3_u32 v116, 0, v56, v59
	v_add_f64 v[6:7], v[6:7], v[28:29]
	v_fma_f64 v[52:53], v[93:94], s[14:15], v[52:53]
	v_add_f64 v[54:55], v[10:11], -v[16:17]
	v_add_f64 v[97:98], v[89:90], -v[20:21]
	v_fma_f64 v[95:96], v[77:78], s[14:15], v[95:96]
	v_fma_f64 v[2:3], v[77:78], s[14:15], v[2:3]
	v_add_f64 v[77:78], v[0:1], v[10:11]
	v_add_f64 v[99:100], v[10:11], v[89:90]
	v_fma_f64 v[79:80], v[79:80], -0.5, v[0:1]
	v_add_f64 v[101:102], v[8:9], -v[91:92]
	ds_write2_b64 v116, v[6:7], v[52:53] offset1:45
	ds_write2_b64 v116, v[95:96], v[2:3] offset0:90 offset1:135
	v_fma_f64 v[2:3], v[93:94], s[14:15], v[4:5]
	v_add_f64 v[4:5], v[77:78], v[16:17]
	v_add_f64 v[77:78], v[16:17], -v[10:11]
	v_add_f64 v[93:94], v[20:21], -v[89:90]
	;; [unrolled: 1-line block ×3, first 2 shown]
	v_fma_f64 v[0:1], v[99:100], -0.5, v[0:1]
	v_add_f64 v[52:53], v[54:55], v[97:98]
	v_fma_f64 v[54:55], v[101:102], s[10:11], v[79:80]
	v_fma_f64 v[79:80], v[101:102], s[18:19], v[79:80]
	ds_write_b64 v116, v[2:3] offset:1440
	v_add_f64 v[2:3], v[4:5], v[20:21]
	v_add_f64 v[77:78], v[77:78], v[93:94]
	v_add_f64 v[93:94], v[71:72], -v[69:70]
	v_add_f64 v[69:70], v[85:86], v[73:74]
	v_fma_f64 v[95:96], v[6:7], s[18:19], v[0:1]
	v_fma_f64 v[0:1], v[6:7], s[10:11], v[0:1]
	;; [unrolled: 1-line block ×4, first 2 shown]
	v_add_f64 v[79:80], v[67:68], -v[57:58]
	v_add_f64 v[4:5], v[122:123], v[87:88]
	v_add_f64 v[56:57], v[73:74], -v[122:123]
	v_add_f64 v[67:68], v[69:70], v[122:123]
	v_add_f64 v[58:59], v[75:76], -v[87:88]
	v_add_f64 v[28:29], v[30:31], -v[28:29]
	v_fma_f64 v[54:55], v[52:53], s[14:15], v[54:55]
	v_fma_f64 v[6:7], v[52:53], s[14:15], v[6:7]
	v_add_f64 v[30:31], v[83:84], v[22:23]
	v_fma_f64 v[97:98], v[4:5], -0.5, v[85:86]
	v_fma_f64 v[4:5], v[101:102], s[0:1], v[95:96]
	v_add_f64 v[52:53], v[67:68], v[87:88]
	v_add_f64 v[67:68], v[73:74], v[75:76]
	v_add_f64 v[87:88], v[87:88], -v[75:76]
	v_add_f64 v[95:96], v[56:57], v[58:59]
	v_fma_f64 v[0:1], v[101:102], s[16:17], v[0:1]
	v_add_f64 v[2:3], v[2:3], v[89:90]
	v_fma_f64 v[69:70], v[93:94], s[18:19], v[97:98]
	v_fma_f64 v[97:98], v[93:94], s[10:11], v[97:98]
	v_add_f64 v[99:100], v[52:53], v[75:76]
	v_fma_f64 v[85:86], v[67:68], -0.5, v[85:86]
	v_add_f64 v[87:88], v[105:106], v[87:88]
	v_fma_f64 v[105:106], v[109:110], -0.5, v[83:84]
	v_add_f64 v[30:31], v[30:31], v[12:13]
	v_fma_f64 v[4:5], v[77:78], s[14:15], v[4:5]
	v_fma_f64 v[56:57], v[79:80], s[16:17], v[69:70]
	;; [unrolled: 1-line block ×3, first 2 shown]
	v_add_f64 v[24:25], v[24:25], -v[32:33]
	v_fma_f64 v[111:112], v[79:80], s[10:11], v[85:86]
	v_fma_f64 v[85:86], v[79:80], s[18:19], v[85:86]
	v_add_f64 v[32:33], v[22:23], -v[12:13]
	v_fma_f64 v[79:80], v[79:80], s[0:1], v[97:98]
	v_add_f64 v[12:13], v[12:13], -v[22:23]
	v_fma_f64 v[101:102], v[95:96], s[14:15], v[56:57]
	v_mul_u32_u24_e32 v58, 0x708, v126
	v_lshlrev_b32_e32 v59, 3, v127
	v_fma_f64 v[109:110], v[93:94], s[16:17], v[111:112]
	v_fma_f64 v[85:86], v[93:94], s[0:1], v[85:86]
	v_add_f64 v[93:94], v[22:23], v[18:19]
	v_add_f64 v[22:23], v[26:27], -v[18:19]
	v_add3_u32 v117, 0, v58, v59
	ds_write2_b64 v117, v[2:3], v[54:55] offset1:45
	ds_write2_b64 v117, v[4:5], v[0:1] offset0:90 offset1:135
	ds_write_b64 v117, v[6:7] offset:1440
	s_waitcnt lgkmcnt(0)
	s_barrier
	v_fma_f64 v[97:98], v[87:88], s[14:15], v[109:110]
	v_fma_f64 v[85:86], v[87:88], s[14:15], v[85:86]
	v_fma_f64 v[83:84], v[93:94], -0.5, v[83:84]
	v_add_f64 v[87:88], v[8:9], v[91:92]
	v_add_f64 v[93:94], v[14:15], v[103:104]
	ds_read_b64 v[107:108], v39
	ds_read_b64 v[6:7], v48
	;; [unrolled: 1-line block ×5, first 2 shown]
	ds_read2_b64 v[52:55], v36 offset0:35 offset1:170
	ds_read2_b64 v[56:59], v43 offset0:63 offset1:198
	;; [unrolled: 1-line block ×5, first 2 shown]
	s_waitcnt lgkmcnt(0)
	s_barrier
	v_fma_f64 v[113:114], v[28:29], s[18:19], v[105:106]
	ds_write2_b64 v115, v[99:100], v[101:102] offset1:45
	v_add_f64 v[30:31], v[30:31], v[26:27]
	v_fma_f64 v[101:102], v[28:29], s[10:11], v[105:106]
	v_fma_f64 v[79:80], v[95:96], s[14:15], v[79:80]
	;; [unrolled: 1-line block ×3, first 2 shown]
	v_add_f64 v[12:13], v[12:13], v[22:23]
	v_add_f64 v[22:23], v[81:82], v[8:9]
	v_add_f64 v[10:11], v[10:11], -v[89:90]
	v_add_f64 v[16:17], v[16:17], -v[20:21]
	v_fma_f64 v[20:21], v[87:88], -0.5, v[81:82]
	v_fma_f64 v[81:82], v[93:94], -0.5, v[81:82]
	v_add_f64 v[111:112], v[18:19], -v[26:27]
	v_fma_f64 v[99:100], v[24:25], s[16:17], v[113:114]
	v_add_f64 v[18:19], v[30:31], v[18:19]
	v_fma_f64 v[30:31], v[24:25], s[0:1], v[101:102]
	v_fma_f64 v[24:25], v[24:25], s[18:19], v[83:84]
	;; [unrolled: 1-line block ×3, first 2 shown]
	v_add_f64 v[87:88], v[8:9], -v[14:15]
	v_add_f64 v[89:90], v[91:92], -v[103:104]
	v_add_f64 v[22:23], v[22:23], v[14:15]
	v_fma_f64 v[95:96], v[10:11], s[18:19], v[81:82]
	v_add_f64 v[8:9], v[14:15], -v[8:9]
	v_add_f64 v[14:15], v[103:104], -v[91:92]
	v_fma_f64 v[93:94], v[16:17], s[10:11], v[20:21]
	v_fma_f64 v[20:21], v[16:17], s[18:19], v[20:21]
	;; [unrolled: 1-line block ×3, first 2 shown]
	v_add_f64 v[32:33], v[32:33], v[111:112]
	v_fma_f64 v[24:25], v[28:29], s[0:1], v[24:25]
	v_add_f64 v[28:29], v[87:88], v[89:90]
	v_add_f64 v[22:23], v[22:23], v[103:104]
	v_fma_f64 v[87:88], v[16:17], s[16:17], v[95:96]
	v_add_f64 v[8:9], v[8:9], v[14:15]
	v_fma_f64 v[14:15], v[10:11], s[16:17], v[93:94]
	v_fma_f64 v[10:11], v[10:11], s[0:1], v[20:21]
	;; [unrolled: 1-line block ×7, first 2 shown]
	v_add_f64 v[22:23], v[22:23], v[91:92]
	v_fma_f64 v[24:25], v[28:29], s[14:15], v[87:88]
	v_fma_f64 v[14:15], v[8:9], s[14:15], v[14:15]
	v_fma_f64 v[8:9], v[8:9], s[14:15], v[10:11]
	v_fma_f64 v[10:11], v[28:29], s[14:15], v[16:17]
	ds_write2_b64 v115, v[97:98], v[85:86] offset0:90 offset1:135
	ds_write_b64 v115, v[79:80] offset:1440
	ds_write2_b64 v116, v[18:19], v[26:27] offset1:45
	ds_write2_b64 v116, v[30:31], v[12:13] offset0:90 offset1:135
	ds_write_b64 v116, v[20:21] offset:1440
	ds_write2_b64 v117, v[22:23], v[24:25] offset1:45
	ds_write2_b64 v117, v[14:15], v[8:9] offset0:90 offset1:135
	ds_write_b64 v117, v[10:11] offset:1440
	v_lshlrev_b32_e32 v22, 1, v62
	v_mov_b32_e32 v23, 0
	v_lshlrev_b64 v[8:9], 4, v[22:23]
	v_mov_b32_e32 v26, s9
	v_add_co_u32_e64 v20, s[0:1], s8, v8
	v_addc_co_u32_e64 v21, s[0:1], v26, v9, s[0:1]
	s_movk_i32 s0, 0x5a
	v_add_u32_e32 v12, 0xffffffa6, v62
	v_cmp_gt_u32_e64 s[0:1], s0, v62
	v_cndmask_b32_e64 v113, v12, v63, s[0:1]
	v_lshlrev_b32_e32 v12, 1, v113
	v_mov_b32_e32 v13, v23
	v_lshlrev_b64 v[12:13], 4, v[12:13]
	s_waitcnt lgkmcnt(0)
	v_add_co_u32_e64 v24, s[0:1], s8, v12
	s_barrier
	global_load_dwordx4 v[8:11], v[20:21], off offset:3552
	v_addc_co_u32_e64 v25, s[0:1], v26, v13, s[0:1]
	global_load_dwordx4 v[12:15], v[24:25], off offset:3552
	global_load_dwordx4 v[16:19], v[24:25], off offset:3568
	v_add_u32_e32 v22, 0x5a, v22
	v_lshlrev_b64 v[24:25], 4, v[22:23]
	v_add_co_u32_e64 v32, s[0:1], s8, v24
	v_addc_co_u32_e64 v33, s[0:1], v26, v25, s[0:1]
	global_load_dwordx4 v[24:27], v[32:33], off offset:3568
	global_load_dwordx4 v[28:31], v[32:33], off offset:3552
	s_mov_b32 s0, 0x91a3
	v_mul_u32_u24_sdwa v22, v65, s0 dst_sel:DWORD dst_unused:UNUSED_PAD src0_sel:WORD_0 src1_sel:DWORD
	v_lshrrev_b32_e32 v22, 23, v22
	v_mul_lo_u16_e32 v32, 0xe1, v22
	v_sub_u16_e32 v114, v65, v32
	v_lshlrev_b32_e32 v32, 5, v114
	global_load_dwordx4 v[79:82], v32, s[8:9] offset:3552
	global_load_dwordx4 v[83:86], v[20:21], off offset:3568
	v_mul_u32_u24_sdwa v33, v66, s0 dst_sel:DWORD dst_unused:UNUSED_PAD src0_sel:WORD_0 src1_sel:DWORD
	v_lshrrev_b32_e32 v33, 23, v33
	v_mul_lo_u16_e32 v33, 0xe1, v33
	v_sub_u16_e32 v115, v66, v33
	v_lshlrev_b32_e32 v33, 5, v115
	global_load_dwordx4 v[87:90], v33, s[8:9] offset:3552
	global_load_dwordx4 v[91:94], v32, s[8:9] offset:3568
	;; [unrolled: 1-line block ×3, first 2 shown]
	ds_read2_b64 v[99:102], v36 offset0:35 offset1:170
	ds_read2_b64 v[103:106], v40 offset0:77 offset1:212
	s_movk_i32 s0, 0x59
	v_cmp_lt_u32_e64 s[0:1], s0, v62
	s_waitcnt vmcnt(9) lgkmcnt(1)
	v_mul_f64 v[32:33], v[99:100], v[10:11]
	v_mul_f64 v[10:11], v[52:53], v[10:11]
	s_waitcnt vmcnt(8)
	v_mul_f64 v[109:110], v[101:102], v[14:15]
	v_mul_f64 v[14:15], v[54:55], v[14:15]
	s_waitcnt vmcnt(7) lgkmcnt(0)
	v_mul_f64 v[111:112], v[103:104], v[18:19]
	v_mul_f64 v[18:19], v[67:68], v[18:19]
	v_fma_f64 v[32:33], v[52:53], v[8:9], v[32:33]
	v_fma_f64 v[52:53], v[99:100], v[8:9], -v[10:11]
	v_fma_f64 v[54:55], v[54:55], v[12:13], v[109:110]
	v_fma_f64 v[99:100], v[101:102], v[12:13], -v[14:15]
	s_waitcnt vmcnt(6)
	v_mul_f64 v[101:102], v[105:106], v[26:27]
	ds_read2_b64 v[12:15], v43 offset0:63 offset1:198
	v_fma_f64 v[67:68], v[67:68], v[16:17], v[111:112]
	v_fma_f64 v[103:104], v[103:104], v[16:17], -v[18:19]
	v_mul_f64 v[16:17], v[69:70], v[26:27]
	ds_read2_b64 v[8:11], v41 offset0:49 offset1:184
	s_waitcnt vmcnt(5)
	v_mul_f64 v[26:27], v[71:72], v[30:31]
	v_fma_f64 v[69:70], v[69:70], v[24:25], v[101:102]
	s_waitcnt vmcnt(3) lgkmcnt(1)
	v_mul_f64 v[101:102], v[14:15], v[85:86]
	s_waitcnt lgkmcnt(0)
	v_mul_f64 v[18:19], v[8:9], v[30:31]
	v_mul_f64 v[30:31], v[10:11], v[81:82]
	;; [unrolled: 1-line block ×4, first 2 shown]
	v_fma_f64 v[105:106], v[105:106], v[24:25], -v[16:17]
	v_fma_f64 v[109:110], v[8:9], v[28:29], -v[26:27]
	s_waitcnt vmcnt(2)
	v_mul_f64 v[24:25], v[56:57], v[89:90]
	v_fma_f64 v[16:17], v[58:59], v[83:84], v[101:102]
	v_fma_f64 v[71:72], v[71:72], v[28:29], v[18:19]
	;; [unrolled: 1-line block ×3, first 2 shown]
	v_fma_f64 v[79:80], v[10:11], v[79:80], -v[81:82]
	v_fma_f64 v[14:15], v[14:15], v[83:84], -v[85:86]
	v_mul_f64 v[18:19], v[12:13], v[89:90]
	s_waitcnt vmcnt(1)
	v_mul_f64 v[28:29], v[75:76], v[93:94]
	ds_read2_b64 v[8:11], v47 offset0:91 offset1:226
	v_add_f64 v[81:82], v[32:33], v[16:17]
	s_waitcnt vmcnt(0)
	v_mul_f64 v[58:59], v[77:78], v[97:98]
	v_add_f64 v[83:84], v[107:108], v[32:33]
	v_fma_f64 v[85:86], v[12:13], v[87:88], -v[24:25]
	s_waitcnt lgkmcnt(0)
	v_mul_f64 v[26:27], v[8:9], v[93:94]
	v_fma_f64 v[56:57], v[56:57], v[87:88], v[18:19]
	v_fma_f64 v[87:88], v[8:9], v[91:92], -v[28:29]
	v_add_f64 v[12:13], v[52:53], -v[14:15]
	v_fma_f64 v[8:9], v[81:82], -0.5, v[107:108]
	v_add_f64 v[24:25], v[54:55], v[67:68]
	v_mul_f64 v[30:31], v[10:11], v[97:98]
	v_fma_f64 v[58:59], v[10:11], v[95:96], -v[58:59]
	v_fma_f64 v[75:76], v[75:76], v[91:92], v[26:27]
	v_add_f64 v[10:11], v[83:84], v[16:17]
	ds_read_b64 v[18:19], v39
	ds_read_b64 v[81:82], v48
	;; [unrolled: 1-line block ×5, first 2 shown]
	v_fma_f64 v[26:27], v[12:13], s[4:5], v[8:9]
	v_fma_f64 v[8:9], v[12:13], s[6:7], v[8:9]
	v_fma_f64 v[12:13], v[24:25], -0.5, v[6:7]
	v_add_f64 v[6:7], v[6:7], v[54:55]
	v_add_f64 v[24:25], v[99:100], -v[103:104]
	s_waitcnt lgkmcnt(0)
	s_barrier
	v_add_f64 v[28:29], v[71:72], v[69:70]
	ds_write2_b64 v39, v[10:11], v[26:27] offset1:225
	ds_write_b64 v39, v[8:9] offset:3600
	v_mov_b32_e32 v26, 0x1518
	v_add_f64 v[6:7], v[6:7], v[67:68]
	v_fma_f64 v[8:9], v[24:25], s[4:5], v[12:13]
	v_cndmask_b32_e64 v26, 0, v26, s[0:1]
	v_lshlrev_b32_e32 v27, 3, v113
	v_add3_u32 v97, 0, v26, v27
	v_fma_f64 v[77:78], v[77:78], v[95:96], v[30:31]
	v_fma_f64 v[10:11], v[24:25], s[6:7], v[12:13]
	v_fma_f64 v[12:13], v[28:29], -0.5, v[4:5]
	v_add_f64 v[4:5], v[4:5], v[71:72]
	v_add_f64 v[24:25], v[109:110], -v[105:106]
	ds_write2_b64 v97, v[6:7], v[8:9] offset1:225
	v_add_f64 v[6:7], v[73:74], v[75:76]
	v_lshl_add_u32 v98, v62, 3, 0
	v_add_u32_e32 v101, 0x1600, v98
	ds_write_b64 v97, v[10:11] offset:3600
	v_add_f64 v[26:27], v[52:53], v[14:15]
	v_add_f64 v[4:5], v[4:5], v[69:70]
	v_fma_f64 v[8:9], v[24:25], s[4:5], v[12:13]
	v_fma_f64 v[10:11], v[24:25], s[6:7], v[12:13]
	v_add_f64 v[12:13], v[56:57], v[77:78]
	v_fma_f64 v[6:7], v[6:7], -0.5, v[2:3]
	v_add_f64 v[2:3], v[2:3], v[73:74]
	v_add_f64 v[24:25], v[79:80], -v[87:88]
	ds_write2_b64 v101, v[4:5], v[8:9] offset0:16 offset1:241
	ds_write_b64 v98, v[10:11] offset:9360
	v_add_f64 v[8:9], v[85:86], -v[58:59]
	v_fma_f64 v[4:5], v[12:13], -0.5, v[0:1]
	v_add_f64 v[0:1], v[0:1], v[56:57]
	v_add_f64 v[2:3], v[2:3], v[75:76]
	v_fma_f64 v[10:11], v[24:25], s[4:5], v[6:7]
	v_mul_u32_u24_e32 v12, 0x1518, v22
	v_lshlrev_b32_e32 v13, 3, v114
	v_add3_u32 v22, 0, v12, v13
	v_fma_f64 v[6:7], v[24:25], s[6:7], v[6:7]
	v_fma_f64 v[12:13], v[8:9], s[4:5], v[4:5]
	v_add_f64 v[0:1], v[0:1], v[77:78]
	v_add_f64 v[24:25], v[18:19], v[52:53]
	ds_write2_b64 v22, v[2:3], v[10:11] offset1:225
	v_fma_f64 v[2:3], v[8:9], s[6:7], v[4:5]
	v_add_f64 v[8:9], v[99:100], v[103:104]
	v_lshl_add_u32 v102, v115, 3, 0
	v_fma_f64 v[93:94], v[26:27], -0.5, v[18:19]
	v_add_f64 v[95:96], v[32:33], -v[16:17]
	v_add_u32_e32 v107, 0x2a00, v102
	ds_write_b64 v22, v[6:7] offset:3600
	ds_write2_b64 v107, v[0:1], v[12:13] offset0:6 offset1:231
	v_add_f64 v[52:53], v[24:25], v[14:15]
	ds_write_b64 v102, v[2:3] offset:14400
	s_waitcnt lgkmcnt(0)
	s_barrier
	ds_read_b64 v[28:29], v49
	ds_read_b64 v[30:31], v50
	;; [unrolled: 1-line block ×5, first 2 shown]
	ds_read2_b64 v[0:3], v36 offset0:35 offset1:170
	ds_read2_b64 v[4:7], v43 offset0:63 offset1:198
	v_add_f64 v[48:49], v[81:82], v[99:100]
	v_fma_f64 v[50:51], v[8:9], -0.5, v[81:82]
	v_add_f64 v[54:55], v[54:55], -v[67:68]
	v_fma_f64 v[67:68], v[95:96], s[6:7], v[93:94]
	v_fma_f64 v[81:82], v[95:96], s[4:5], v[93:94]
	ds_read2_b64 v[8:11], v40 offset0:77 offset1:212
	ds_read2_b64 v[12:15], v41 offset0:49 offset1:184
	;; [unrolled: 1-line block ×3, first 2 shown]
	s_waitcnt lgkmcnt(0)
	s_barrier
	v_add_f64 v[48:49], v[48:49], v[103:104]
	v_fma_f64 v[93:94], v[54:55], s[6:7], v[50:51]
	v_fma_f64 v[50:51], v[54:55], s[4:5], v[50:51]
	v_add_f64 v[54:55], v[109:110], v[105:106]
	ds_write2_b64 v39, v[52:53], v[67:68] offset1:225
	ds_write_b64 v39, v[81:82] offset:3600
	v_add_f64 v[52:53], v[79:80], v[87:88]
	ds_write2_b64 v97, v[48:49], v[93:94] offset1:225
	ds_write_b64 v97, v[50:51] offset:3600
	v_add_f64 v[48:49], v[85:86], v[58:59]
	v_add_f64 v[50:51], v[83:84], v[109:110]
	v_fma_f64 v[54:55], v[54:55], -0.5, v[83:84]
	v_add_f64 v[67:68], v[71:72], -v[69:70]
	v_add_f64 v[69:70], v[89:90], v[79:80]
	v_fma_f64 v[52:53], v[52:53], -0.5, v[89:90]
	v_add_f64 v[71:72], v[73:74], -v[75:76]
	;; [unrolled: 3-line block ×3, first 2 shown]
	v_add_f64 v[50:51], v[50:51], v[105:106]
	v_fma_f64 v[75:76], v[67:68], s[6:7], v[54:55]
	v_fma_f64 v[54:55], v[67:68], s[4:5], v[54:55]
	v_add_f64 v[67:68], v[69:70], v[87:88]
	v_fma_f64 v[69:70], v[71:72], s[6:7], v[52:53]
	v_fma_f64 v[52:53], v[71:72], s[4:5], v[52:53]
	;; [unrolled: 3-line block ×3, first 2 shown]
	s_movk_i32 s0, 0x2000
	s_movk_i32 s1, 0x2a00
	ds_write2_b64 v101, v[50:51], v[75:76] offset0:16 offset1:241
	ds_write_b64 v98, v[54:55] offset:9360
	ds_write2_b64 v22, v[67:68], v[69:70] offset1:225
	ds_write_b64 v22, v[52:53] offset:3600
	ds_write2_b64 v107, v[58:59], v[71:72] offset0:6 offset1:231
	ds_write_b64 v102, v[48:49] offset:14400
	s_waitcnt lgkmcnt(0)
	s_barrier
	s_and_saveexec_b64 s[10:11], vcc
	s_cbranch_execz .LBB0_15
; %bb.14:
	v_lshlrev_b32_e32 v22, 1, v66
	v_lshlrev_b64 v[48:49], 4, v[22:23]
	v_mov_b32_e32 v81, s9
	v_add_co_u32_e32 v22, vcc, s8, v48
	v_addc_co_u32_e32 v48, vcc, v81, v49, vcc
	v_add_co_u32_e32 v56, vcc, s1, v22
	v_addc_co_u32_e32 v57, vcc, 0, v48, vcc
	;; [unrolled: 2-line block ×3, first 2 shown]
	global_load_dwordx4 v[48:51], v[58:59], off offset:2560
	global_load_dwordx4 v[52:55], v[56:57], off offset:16
	v_lshlrev_b32_e32 v22, 1, v65
	v_lshlrev_b64 v[56:57], 4, v[22:23]
	v_sub_u32_e32 v105, 0, v44
	v_add_co_u32_e32 v22, vcc, s8, v56
	v_addc_co_u32_e32 v56, vcc, v81, v57, vcc
	v_add_co_u32_e32 v69, vcc, s1, v22
	v_addc_co_u32_e32 v70, vcc, 0, v56, vcc
	;; [unrolled: 2-line block ×3, first 2 shown]
	global_load_dwordx4 v[56:59], v[71:72], off offset:2560
	global_load_dwordx4 v[65:68], v[69:70], off offset:16
	v_lshlrev_b32_e32 v22, 1, v64
	v_lshlrev_b64 v[69:70], 4, v[22:23]
	v_sub_u32_e32 v106, 0, v45
	v_add_co_u32_e32 v22, vcc, s8, v69
	v_addc_co_u32_e32 v64, vcc, v81, v70, vcc
	v_add_co_u32_e32 v69, vcc, s0, v22
	v_addc_co_u32_e32 v70, vcc, 0, v64, vcc
	global_load_dwordx4 v[69:72], v[69:70], off offset:2560
	v_add_co_u32_e32 v73, vcc, s1, v22
	v_addc_co_u32_e32 v74, vcc, 0, v64, vcc
	global_load_dwordx4 v[73:76], v[73:74], off offset:16
	v_lshlrev_b32_e32 v22, 1, v63
	v_lshlrev_b64 v[22:23], 4, v[22:23]
	v_sub_u32_e32 v107, 0, v46
	ds_read2_b64 v[43:46], v43 offset0:63 offset1:198
	ds_read2_b64 v[77:80], v47 offset0:91 offset1:226
	v_add_co_u32_e32 v47, vcc, s8, v22
	v_addc_co_u32_e32 v63, vcc, v81, v23, vcc
	v_add_co_u32_e32 v22, vcc, s0, v47
	v_addc_co_u32_e32 v23, vcc, 0, v63, vcc
	global_load_dwordx4 v[81:84], v[22:23], off offset:2560
	v_add_co_u32_e32 v22, vcc, s1, v47
	v_addc_co_u32_e32 v23, vcc, 0, v63, vcc
	v_add_co_u32_e32 v63, vcc, s1, v20
	v_addc_co_u32_e32 v64, vcc, 0, v21, vcc
	;; [unrolled: 2-line block ×3, first 2 shown]
	global_load_dwordx4 v[85:88], v[22:23], off offset:16
	s_nop 0
	global_load_dwordx4 v[20:23], v[93:94], off offset:2560
	global_load_dwordx4 v[89:92], v[63:64], off offset:16
	v_sub_u32_e32 v42, 0, v42
	ds_read2_b64 v[93:96], v41 offset0:49 offset1:184
	ds_read2_b64 v[97:100], v40 offset0:77 offset1:212
	v_add_u32_e32 v38, v38, v42
	v_add_u32_e32 v37, v37, v107
	;; [unrolled: 1-line block ×3, first 2 shown]
	s_waitcnt vmcnt(9)
	v_mul_f64 v[63:64], v[4:5], v[50:51]
	s_waitcnt lgkmcnt(3)
	v_mul_f64 v[50:51], v[43:44], v[50:51]
	s_waitcnt vmcnt(8)
	v_mul_f64 v[101:102], v[18:19], v[54:55]
	s_waitcnt lgkmcnt(2)
	v_mul_f64 v[54:55], v[79:80], v[54:55]
	v_fma_f64 v[40:41], v[43:44], v[48:49], -v[63:64]
	v_fma_f64 v[4:5], v[4:5], v[48:49], v[50:51]
	v_fma_f64 v[42:43], v[79:80], v[52:53], -v[101:102]
	v_fma_f64 v[47:48], v[18:19], v[52:53], v[54:55]
	ds_read_b64 v[18:19], v38
	ds_read_b64 v[79:80], v39
	s_waitcnt vmcnt(7)
	v_mul_f64 v[38:39], v[14:15], v[58:59]
	s_waitcnt vmcnt(6)
	v_mul_f64 v[49:50], v[16:17], v[67:68]
	s_waitcnt lgkmcnt(3)
	v_mul_f64 v[51:52], v[95:96], v[58:59]
	v_mul_f64 v[53:54], v[77:78], v[67:68]
	v_add_f64 v[58:59], v[40:41], v[42:43]
	v_add_f64 v[67:68], v[4:5], v[47:48]
	v_add_f64 v[103:104], v[40:41], -v[42:43]
	v_fma_f64 v[95:96], v[95:96], v[56:57], -v[38:39]
	v_fma_f64 v[77:78], v[77:78], v[65:66], -v[49:50]
	s_waitcnt lgkmcnt(1)
	v_add_f64 v[38:39], v[18:19], v[40:41]
	v_add_f64 v[49:50], v[4:5], -v[47:48]
	v_fma_f64 v[58:59], v[58:59], -0.5, v[18:19]
	s_waitcnt vmcnt(5)
	v_mul_f64 v[63:64], v[12:13], v[71:72]
	v_fma_f64 v[67:68], v[67:68], -0.5, v[32:33]
	v_fma_f64 v[51:52], v[14:15], v[56:57], v[51:52]
	v_fma_f64 v[55:56], v[16:17], v[65:66], v[53:54]
	v_add_f64 v[4:5], v[32:33], v[4:5]
	v_mul_f64 v[53:54], v[93:94], v[71:72]
	v_add_f64 v[32:33], v[95:96], v[77:78]
	v_add_f64 v[14:15], v[38:39], v[42:43]
	ds_read_b64 v[42:43], v37
	v_fma_f64 v[18:19], v[49:50], s[4:5], v[58:59]
	v_fma_f64 v[40:41], v[49:50], s[6:7], v[58:59]
	;; [unrolled: 1-line block ×4, first 2 shown]
	v_add_f64 v[49:50], v[51:52], v[55:56]
	v_fma_f64 v[67:68], v[93:94], v[69:70], -v[63:64]
	v_fma_f64 v[69:70], v[12:13], v[69:70], v[53:54]
	v_add_f64 v[12:13], v[4:5], v[47:48]
	v_add_f64 v[4:5], v[30:31], v[51:52]
	s_waitcnt vmcnt(4)
	v_mul_f64 v[101:102], v[10:11], v[75:76]
	v_mul_f64 v[57:58], v[99:100], v[75:76]
	s_waitcnt lgkmcnt(0)
	v_fma_f64 v[63:64], v[32:33], -0.5, v[42:43]
	v_add_f64 v[65:66], v[51:52], -v[55:56]
	v_fma_f64 v[71:72], v[49:50], -0.5, v[30:31]
	v_add_f64 v[75:76], v[95:96], -v[77:78]
	v_add_f64 v[42:43], v[42:43], v[95:96]
	v_add_f64 v[51:52], v[4:5], v[55:56]
	s_waitcnt vmcnt(3)
	v_mul_f64 v[55:56], v[2:3], v[83:84]
	v_fma_f64 v[101:102], v[99:100], v[73:74], -v[101:102]
	v_fma_f64 v[73:74], v[10:11], v[73:74], v[57:58]
	v_fma_f64 v[32:33], v[65:66], s[4:5], v[63:64]
	;; [unrolled: 1-line block ×3, first 2 shown]
	ds_read2_b64 v[63:66], v36 offset0:35 offset1:170
	v_add_u32_e32 v10, v35, v106
	v_fma_f64 v[30:31], v[75:76], s[6:7], v[71:72]
	v_fma_f64 v[47:48], v[75:76], s[4:5], v[71:72]
	s_waitcnt vmcnt(2)
	v_mul_f64 v[35:36], v[8:9], v[87:88]
	s_waitcnt lgkmcnt(0)
	v_fma_f64 v[71:72], v[65:66], v[81:82], -v[55:56]
	v_mul_f64 v[65:66], v[65:66], v[83:84]
	s_waitcnt vmcnt(0)
	v_mul_f64 v[83:84], v[6:7], v[91:92]
	v_add_f64 v[93:94], v[67:68], v[101:102]
	v_add_f64 v[53:54], v[42:43], v[77:78]
	;; [unrolled: 1-line block ×3, first 2 shown]
	v_mul_f64 v[75:76], v[97:98], v[87:88]
	ds_read_b64 v[10:11], v10
	ds_read_b64 v[87:88], v34
	v_fma_f64 v[35:36], v[97:98], v[85:86], -v[35:36]
	v_mul_f64 v[77:78], v[0:1], v[22:23]
	v_fma_f64 v[65:66], v[2:3], v[81:82], v[65:66]
	v_fma_f64 v[81:82], v[45:46], v[89:90], -v[83:84]
	v_mul_f64 v[22:23], v[63:64], v[22:23]
	v_mul_f64 v[44:45], v[45:46], v[91:92]
	s_waitcnt lgkmcnt(1)
	v_fma_f64 v[93:94], v[93:94], -0.5, v[10:11]
	v_add_f64 v[10:11], v[10:11], v[67:68]
	v_fma_f64 v[42:43], v[42:43], -0.5, v[28:29]
	v_add_f64 v[67:68], v[67:68], -v[101:102]
	v_fma_f64 v[75:76], v[8:9], v[85:86], v[75:76]
	v_add_f64 v[8:9], v[71:72], v[35:36]
	v_add_f64 v[28:29], v[28:29], v[69:70]
	v_fma_f64 v[0:1], v[0:1], v[20:21], v[22:23]
	v_fma_f64 v[6:7], v[6:7], v[89:90], v[44:45]
	v_fma_f64 v[77:78], v[63:64], v[20:21], -v[77:78]
	v_add_f64 v[95:96], v[69:70], -v[73:74]
	v_fma_f64 v[55:56], v[67:68], s[6:7], v[42:43]
	v_fma_f64 v[2:3], v[67:68], s[4:5], v[42:43]
	v_add_f64 v[42:43], v[65:66], v[75:76]
	s_waitcnt lgkmcnt(0)
	v_fma_f64 v[63:64], v[8:9], -0.5, v[87:88]
	v_add_f64 v[67:68], v[65:66], -v[75:76]
	v_add_f64 v[8:9], v[28:29], v[73:74]
	v_add_f64 v[73:74], v[0:1], v[6:7]
	;; [unrolled: 1-line block ×4, first 2 shown]
	v_add_f64 v[44:45], v[71:72], -v[35:36]
	v_fma_f64 v[42:43], v[42:43], -0.5, v[26:27]
	v_add_f64 v[65:66], v[26:27], v[65:66]
	v_fma_f64 v[22:23], v[67:68], s[4:5], v[63:64]
	v_fma_f64 v[28:29], v[67:68], s[6:7], v[63:64]
	v_fma_f64 v[63:64], v[73:74], -0.5, v[24:25]
	v_mad_u64_u32 v[73:74], s[0:1], s2, v62, 0
	v_fma_f64 v[69:70], v[69:70], -0.5, v[79:80]
	v_add_f64 v[71:72], v[0:1], -v[6:7]
	v_add_f64 v[36:37], v[20:21], v[35:36]
	v_fma_f64 v[20:21], v[44:45], s[6:7], v[42:43]
	v_fma_f64 v[26:27], v[44:45], s[4:5], v[42:43]
	v_add_f64 v[42:43], v[79:80], v[77:78]
	v_add_f64 v[67:68], v[77:78], -v[81:82]
	v_add_f64 v[0:1], v[24:25], v[0:1]
	v_mov_b32_e32 v24, v74
	v_mad_u64_u32 v[24:25], s[0:1], s3, v62, v[24:25]
	v_add_f64 v[34:35], v[65:66], v[75:76]
	v_fma_f64 v[44:45], v[71:72], s[4:5], v[69:70]
	v_mov_b32_e32 v74, v24
	v_add_u32_e32 v24, 0x2a3, v62
	v_fma_f64 v[65:66], v[71:72], s[6:7], v[69:70]
	v_add_f64 v[69:70], v[42:43], v[81:82]
	v_fma_f64 v[42:43], v[67:68], s[6:7], v[63:64]
	v_fma_f64 v[63:64], v[67:68], s[4:5], v[63:64]
	v_add_f64 v[67:68], v[0:1], v[6:7]
	v_mad_u64_u32 v[6:7], s[0:1], s2, v24, 0
	v_mov_b32_e32 v0, s13
	v_add_co_u32_e32 v46, vcc, s12, v60
	v_mad_u64_u32 v[24:25], s[0:1], s3, v24, v[7:8]
	v_add_u32_e32 v25, 0x546, v62
	v_addc_co_u32_e32 v61, vcc, v0, v61, vcc
	v_lshlrev_b64 v[0:1], 4, v[73:74]
	v_mad_u64_u32 v[59:60], s[0:1], s2, v25, 0
	v_add_co_u32_e32 v0, vcc, v46, v0
	v_addc_co_u32_e32 v1, vcc, v61, v1, vcc
	v_mov_b32_e32 v7, v24
	global_store_dwordx4 v[0:1], v[67:70], off
	v_lshlrev_b64 v[0:1], 4, v[6:7]
	v_mov_b32_e32 v6, v60
	v_mad_u64_u32 v[6:7], s[0:1], s3, v25, v[6:7]
	v_add_u32_e32 v24, 0x87, v62
	v_fma_f64 v[57:58], v[95:96], s[4:5], v[93:94]
	v_mov_b32_e32 v60, v6
	v_mad_u64_u32 v[6:7], s[4:5], s2, v24, 0
	v_add_co_u32_e32 v0, vcc, v46, v0
	v_mad_u64_u32 v[24:25], s[4:5], s3, v24, v[7:8]
	v_addc_co_u32_e32 v1, vcc, v61, v1, vcc
	v_add_u32_e32 v25, 0x32a, v62
	global_store_dwordx4 v[0:1], v[63:66], off
	v_lshlrev_b64 v[0:1], 4, v[59:60]
	v_mad_u64_u32 v[59:60], s[4:5], s2, v25, 0
	v_add_co_u32_e32 v0, vcc, v46, v0
	v_addc_co_u32_e32 v1, vcc, v61, v1, vcc
	v_mov_b32_e32 v7, v24
	global_store_dwordx4 v[0:1], v[42:45], off
	v_lshlrev_b64 v[0:1], 4, v[6:7]
	v_mov_b32_e32 v6, v60
	v_mad_u64_u32 v[6:7], s[4:5], s3, v25, v[6:7]
	v_add_u32_e32 v24, 0x5cd, v62
	v_add_co_u32_e32 v0, vcc, v46, v0
	v_mov_b32_e32 v60, v6
	v_mad_u64_u32 v[6:7], s[4:5], s2, v24, 0
	v_addc_co_u32_e32 v1, vcc, v61, v1, vcc
	v_mad_u64_u32 v[24:25], s[4:5], s3, v24, v[7:8]
	v_add_u32_e32 v25, 0x10e, v62
	s_mov_b32 s1, 0xc22e4507
	global_store_dwordx4 v[0:1], v[34:37], off
	v_lshlrev_b64 v[0:1], 4, v[59:60]
	v_mul_hi_u32 v34, v25, s1
	v_add_co_u32_e32 v0, vcc, v46, v0
	v_addc_co_u32_e32 v1, vcc, v61, v1, vcc
	v_mov_b32_e32 v7, v24
	s_movk_i32 s0, 0x546
	global_store_dwordx4 v[0:1], v[26:29], off
	v_lshlrev_b64 v[0:1], 4, v[6:7]
	v_lshrrev_b32_e32 v6, 9, v34
	v_mad_u32_u24 v27, v6, s0, v25
	v_mad_u64_u32 v[6:7], s[4:5], s2, v27, 0
	v_add_u32_e32 v28, 0x2a3, v27
	v_add_f64 v[10:11], v[10:11], v[101:102]
	v_mad_u64_u32 v[24:25], s[4:5], s3, v27, v[7:8]
	v_mad_u64_u32 v[25:26], s[4:5], s2, v28, 0
	v_add_co_u32_e32 v0, vcc, v46, v0
	v_addc_co_u32_e32 v1, vcc, v61, v1, vcc
	v_mov_b32_e32 v7, v24
	global_store_dwordx4 v[0:1], v[20:23], off
	v_lshlrev_b64 v[0:1], 4, v[6:7]
	v_mov_b32_e32 v6, v26
	v_mad_u64_u32 v[6:7], s[4:5], s3, v28, v[6:7]
	v_add_co_u32_e32 v0, vcc, v46, v0
	v_addc_co_u32_e32 v1, vcc, v61, v1, vcc
	global_store_dwordx4 v[0:1], v[8:11], off
	v_mov_b32_e32 v26, v6
	v_add_u32_e32 v8, 0x546, v27
	v_mad_u64_u32 v[6:7], s[4:5], s2, v8, 0
	v_fma_f64 v[4:5], v[95:96], s[6:7], v[93:94]
	v_lshlrev_b64 v[0:1], 4, v[25:26]
	v_mad_u64_u32 v[7:8], s[4:5], s3, v8, v[7:8]
	v_add_u32_e32 v8, 0x195, v62
	v_mul_hi_u32 v9, v8, s1
	v_add_co_u32_e32 v0, vcc, v46, v0
	v_addc_co_u32_e32 v1, vcc, v61, v1, vcc
	global_store_dwordx4 v[0:1], v[2:5], off
	v_lshlrev_b64 v[0:1], 4, v[6:7]
	v_lshrrev_b32_e32 v2, 9, v9
	v_mad_u32_u24 v6, v2, s0, v8
	v_mad_u64_u32 v[2:3], s[4:5], s2, v6, 0
	v_add_u32_e32 v7, 0x2a3, v6
	v_add_co_u32_e32 v0, vcc, v46, v0
	v_mad_u64_u32 v[3:4], s[4:5], s3, v6, v[3:4]
	v_mad_u64_u32 v[4:5], s[4:5], s2, v7, 0
	v_addc_co_u32_e32 v1, vcc, v61, v1, vcc
	global_store_dwordx4 v[0:1], v[55:58], off
	v_lshlrev_b64 v[0:1], 4, v[2:3]
	v_mov_b32_e32 v2, v5
	v_mad_u64_u32 v[2:3], s[4:5], s3, v7, v[2:3]
	v_add_co_u32_e32 v0, vcc, v46, v0
	v_addc_co_u32_e32 v1, vcc, v61, v1, vcc
	v_mov_b32_e32 v5, v2
	global_store_dwordx4 v[0:1], v[51:54], off
	v_lshlrev_b64 v[0:1], 4, v[4:5]
	v_add_u32_e32 v4, 0x546, v6
	v_mad_u64_u32 v[2:3], s[4:5], s2, v4, 0
	v_add_u32_e32 v5, 0x21c, v62
	v_mul_hi_u32 v6, v5, s1
	v_mad_u64_u32 v[3:4], s[4:5], s3, v4, v[3:4]
	v_add_co_u32_e32 v0, vcc, v46, v0
	v_lshrrev_b32_e32 v4, 9, v6
	v_mad_u32_u24 v6, v4, s0, v5
	v_mad_u64_u32 v[4:5], s[0:1], s2, v6, 0
	v_addc_co_u32_e32 v1, vcc, v61, v1, vcc
	global_store_dwordx4 v[0:1], v[47:50], off
	v_lshlrev_b64 v[0:1], 4, v[2:3]
	v_mov_b32_e32 v2, v5
	v_mad_u64_u32 v[2:3], s[0:1], s3, v6, v[2:3]
	v_add_co_u32_e32 v0, vcc, v46, v0
	v_addc_co_u32_e32 v1, vcc, v61, v1, vcc
	v_mov_b32_e32 v5, v2
	global_store_dwordx4 v[0:1], v[30:33], off
	v_lshlrev_b64 v[0:1], 4, v[4:5]
	v_add_u32_e32 v4, 0x2a3, v6
	v_mad_u64_u32 v[2:3], s[0:1], s2, v4, 0
	v_add_u32_e32 v6, 0x546, v6
	v_add_co_u32_e32 v0, vcc, v46, v0
	v_mad_u64_u32 v[3:4], s[0:1], s3, v4, v[3:4]
	v_mad_u64_u32 v[4:5], s[0:1], s2, v6, 0
	v_addc_co_u32_e32 v1, vcc, v61, v1, vcc
	global_store_dwordx4 v[0:1], v[12:15], off
	v_lshlrev_b64 v[0:1], 4, v[2:3]
	v_mov_b32_e32 v2, v5
	v_mad_u64_u32 v[2:3], s[0:1], s3, v6, v[2:3]
	v_add_co_u32_e32 v0, vcc, v46, v0
	v_addc_co_u32_e32 v1, vcc, v61, v1, vcc
	v_mov_b32_e32 v5, v2
	global_store_dwordx4 v[0:1], v[38:41], off
	v_lshlrev_b64 v[0:1], 4, v[4:5]
	v_add_co_u32_e32 v0, vcc, v46, v0
	v_addc_co_u32_e32 v1, vcc, v61, v1, vcc
	global_store_dwordx4 v[0:1], v[16:19], off
.LBB0_15:
	s_endpgm
	.section	.rodata,"a",@progbits
	.p2align	6, 0x0
	.amdhsa_kernel fft_rtc_back_len2025_factors_3_3_5_5_3_3_wgs_135_tpt_135_halfLds_dp_ip_CI_sbrr_dirReg
		.amdhsa_group_segment_fixed_size 0
		.amdhsa_private_segment_fixed_size 0
		.amdhsa_kernarg_size 88
		.amdhsa_user_sgpr_count 6
		.amdhsa_user_sgpr_private_segment_buffer 1
		.amdhsa_user_sgpr_dispatch_ptr 0
		.amdhsa_user_sgpr_queue_ptr 0
		.amdhsa_user_sgpr_kernarg_segment_ptr 1
		.amdhsa_user_sgpr_dispatch_id 0
		.amdhsa_user_sgpr_flat_scratch_init 0
		.amdhsa_user_sgpr_private_segment_size 0
		.amdhsa_uses_dynamic_stack 0
		.amdhsa_system_sgpr_private_segment_wavefront_offset 0
		.amdhsa_system_sgpr_workgroup_id_x 1
		.amdhsa_system_sgpr_workgroup_id_y 0
		.amdhsa_system_sgpr_workgroup_id_z 0
		.amdhsa_system_sgpr_workgroup_info 0
		.amdhsa_system_vgpr_workitem_id 0
		.amdhsa_next_free_vgpr 128
		.amdhsa_next_free_sgpr 24
		.amdhsa_reserve_vcc 1
		.amdhsa_reserve_flat_scratch 0
		.amdhsa_float_round_mode_32 0
		.amdhsa_float_round_mode_16_64 0
		.amdhsa_float_denorm_mode_32 3
		.amdhsa_float_denorm_mode_16_64 3
		.amdhsa_dx10_clamp 1
		.amdhsa_ieee_mode 1
		.amdhsa_fp16_overflow 0
		.amdhsa_exception_fp_ieee_invalid_op 0
		.amdhsa_exception_fp_denorm_src 0
		.amdhsa_exception_fp_ieee_div_zero 0
		.amdhsa_exception_fp_ieee_overflow 0
		.amdhsa_exception_fp_ieee_underflow 0
		.amdhsa_exception_fp_ieee_inexact 0
		.amdhsa_exception_int_div_zero 0
	.end_amdhsa_kernel
	.text
.Lfunc_end0:
	.size	fft_rtc_back_len2025_factors_3_3_5_5_3_3_wgs_135_tpt_135_halfLds_dp_ip_CI_sbrr_dirReg, .Lfunc_end0-fft_rtc_back_len2025_factors_3_3_5_5_3_3_wgs_135_tpt_135_halfLds_dp_ip_CI_sbrr_dirReg
                                        ; -- End function
	.section	.AMDGPU.csdata,"",@progbits
; Kernel info:
; codeLenInByte = 13440
; NumSgprs: 28
; NumVgprs: 128
; ScratchSize: 0
; MemoryBound: 1
; FloatMode: 240
; IeeeMode: 1
; LDSByteSize: 0 bytes/workgroup (compile time only)
; SGPRBlocks: 3
; VGPRBlocks: 31
; NumSGPRsForWavesPerEU: 28
; NumVGPRsForWavesPerEU: 128
; Occupancy: 2
; WaveLimiterHint : 1
; COMPUTE_PGM_RSRC2:SCRATCH_EN: 0
; COMPUTE_PGM_RSRC2:USER_SGPR: 6
; COMPUTE_PGM_RSRC2:TRAP_HANDLER: 0
; COMPUTE_PGM_RSRC2:TGID_X_EN: 1
; COMPUTE_PGM_RSRC2:TGID_Y_EN: 0
; COMPUTE_PGM_RSRC2:TGID_Z_EN: 0
; COMPUTE_PGM_RSRC2:TIDIG_COMP_CNT: 0
	.type	__hip_cuid_35ef70266f2b33c2,@object ; @__hip_cuid_35ef70266f2b33c2
	.section	.bss,"aw",@nobits
	.globl	__hip_cuid_35ef70266f2b33c2
__hip_cuid_35ef70266f2b33c2:
	.byte	0                               ; 0x0
	.size	__hip_cuid_35ef70266f2b33c2, 1

	.ident	"AMD clang version 19.0.0git (https://github.com/RadeonOpenCompute/llvm-project roc-6.4.0 25133 c7fe45cf4b819c5991fe208aaa96edf142730f1d)"
	.section	".note.GNU-stack","",@progbits
	.addrsig
	.addrsig_sym __hip_cuid_35ef70266f2b33c2
	.amdgpu_metadata
---
amdhsa.kernels:
  - .args:
      - .actual_access:  read_only
        .address_space:  global
        .offset:         0
        .size:           8
        .value_kind:     global_buffer
      - .offset:         8
        .size:           8
        .value_kind:     by_value
      - .actual_access:  read_only
        .address_space:  global
        .offset:         16
        .size:           8
        .value_kind:     global_buffer
      - .actual_access:  read_only
        .address_space:  global
        .offset:         24
        .size:           8
        .value_kind:     global_buffer
      - .offset:         32
        .size:           8
        .value_kind:     by_value
      - .actual_access:  read_only
        .address_space:  global
        .offset:         40
        .size:           8
        .value_kind:     global_buffer
      - .actual_access:  read_only
        .address_space:  global
        .offset:         48
        .size:           8
        .value_kind:     global_buffer
      - .offset:         56
        .size:           4
        .value_kind:     by_value
      - .actual_access:  read_only
        .address_space:  global
        .offset:         64
        .size:           8
        .value_kind:     global_buffer
      - .actual_access:  read_only
        .address_space:  global
        .offset:         72
        .size:           8
        .value_kind:     global_buffer
      - .address_space:  global
        .offset:         80
        .size:           8
        .value_kind:     global_buffer
    .group_segment_fixed_size: 0
    .kernarg_segment_align: 8
    .kernarg_segment_size: 88
    .language:       OpenCL C
    .language_version:
      - 2
      - 0
    .max_flat_workgroup_size: 135
    .name:           fft_rtc_back_len2025_factors_3_3_5_5_3_3_wgs_135_tpt_135_halfLds_dp_ip_CI_sbrr_dirReg
    .private_segment_fixed_size: 0
    .sgpr_count:     28
    .sgpr_spill_count: 0
    .symbol:         fft_rtc_back_len2025_factors_3_3_5_5_3_3_wgs_135_tpt_135_halfLds_dp_ip_CI_sbrr_dirReg.kd
    .uniform_work_group_size: 1
    .uses_dynamic_stack: false
    .vgpr_count:     128
    .vgpr_spill_count: 0
    .wavefront_size: 64
amdhsa.target:   amdgcn-amd-amdhsa--gfx906
amdhsa.version:
  - 1
  - 2
...

	.end_amdgpu_metadata
